;; amdgpu-corpus repo=ROCm/rocFFT kind=compiled arch=gfx950 opt=O3
	.text
	.amdgcn_target "amdgcn-amd-amdhsa--gfx950"
	.amdhsa_code_object_version 6
	.protected	bluestein_single_back_len1694_dim1_dp_op_CI_CI ; -- Begin function bluestein_single_back_len1694_dim1_dp_op_CI_CI
	.globl	bluestein_single_back_len1694_dim1_dp_op_CI_CI
	.p2align	8
	.type	bluestein_single_back_len1694_dim1_dp_op_CI_CI,@function
bluestein_single_back_len1694_dim1_dp_op_CI_CI: ; @bluestein_single_back_len1694_dim1_dp_op_CI_CI
; %bb.0:
	s_load_dwordx4 s[12:15], s[0:1], 0x28
	v_mul_u32_u24_e32 v1, 0x1aa, v0
	v_mov_b32_e32 v215, 0
	v_add_u32_sdwa v216, s2, v1 dst_sel:DWORD dst_unused:UNUSED_PAD src0_sel:DWORD src1_sel:WORD_1
	v_mov_b32_e32 v217, v215
	s_waitcnt lgkmcnt(0)
	v_cmp_gt_u64_e32 vcc, s[12:13], v[216:217]
	s_and_saveexec_b64 s[2:3], vcc
	s_cbranch_execz .LBB0_18
; %bb.1:
	s_load_dwordx4 s[4:7], s[0:1], 0x18
	s_load_dwordx4 s[8:11], s[0:1], 0x0
	v_mov_b32_e32 v2, s14
	v_mov_b32_e32 v3, s15
	s_movk_i32 s2, 0x9a
	s_waitcnt lgkmcnt(0)
	s_load_dwordx4 s[12:15], s[4:5], 0x0
	v_mul_lo_u16_sdwa v1, v1, s2 dst_sel:DWORD dst_unused:UNUSED_PAD src0_sel:WORD_1 src1_sel:DWORD
	v_sub_u16_e32 v214, v0, v1
	v_lshlrev_b32_e32 v212, 4, v214
	v_mov_b32_e32 v213, v215
	s_waitcnt lgkmcnt(0)
	v_mad_u64_u32 v[0:1], s[2:3], s14, v216, 0
	v_mov_b32_e32 v4, v1
	v_mad_u64_u32 v[4:5], s[2:3], s15, v216, v[4:5]
	v_mov_b32_e32 v1, v4
	v_mad_u64_u32 v[4:5], s[2:3], s12, v214, 0
	v_mov_b32_e32 v6, v5
	v_mad_u64_u32 v[6:7], s[2:3], s13, v214, v[6:7]
	v_mov_b32_e32 v5, v6
	v_lshl_add_u64 v[0:1], v[0:1], 4, v[2:3]
	v_lshl_add_u64 v[0:1], v[4:5], 4, v[0:1]
	v_mov_b32_e32 v2, 0x9a0
	v_mad_u64_u32 v[16:17], s[2:3], s12, v2, v[0:1]
	s_movk_i32 s3, 0x1000
	v_lshl_add_u64 v[20:21], s[8:9], 0, v[212:213]
	v_add_co_u32_e32 v18, vcc, s3, v20
	s_movk_i32 s4, 0x2000
	s_nop 0
	v_addc_co_u32_e32 v19, vcc, 0, v21, vcc
	v_add_co_u32_e32 v22, vcc, s4, v20
	s_movk_i32 s5, 0x3000
	s_nop 0
	v_addc_co_u32_e32 v23, vcc, 0, v21, vcc
	v_add_co_u32_e32 v24, vcc, s5, v20
	s_mul_i32 s2, s13, 0x9a0
	s_movk_i32 s13, 0x4000
	v_addc_co_u32_e32 v25, vcc, 0, v21, vcc
	v_add_u32_e32 v17, s2, v17
	v_add_co_u32_e32 v84, vcc, s13, v20
	global_load_dwordx4 v[44:47], v[0:1], off
	global_load_dwordx4 v[4:7], v212, s[8:9]
	global_load_dwordx4 v[92:95], v212, s[8:9] offset:2464
	v_addc_co_u32_e32 v85, vcc, 0, v21, vcc
	global_load_dwordx4 v[40:43], v[18:19], off offset:832
	global_load_dwordx4 v[36:39], v[18:19], off offset:3296
	;; [unrolled: 1-line block ×6, first 2 shown]
	v_mad_u64_u32 v[18:19], s[4:5], s12, v2, v[16:17]
	v_add_u32_e32 v19, s2, v19
	global_load_dwordx4 v[48:51], v[16:17], off
	global_load_dwordx4 v[52:55], v[18:19], off
	v_mad_u64_u32 v[16:17], s[4:5], s12, v2, v[18:19]
	v_add_u32_e32 v17, s2, v17
	v_mad_u64_u32 v[18:19], s[4:5], s12, v2, v[16:17]
	v_add_u32_e32 v19, s2, v19
	global_load_dwordx4 v[56:59], v[16:17], off
	global_load_dwordx4 v[60:63], v[18:19], off
	v_mad_u64_u32 v[16:17], s[4:5], s12, v2, v[18:19]
	v_add_u32_e32 v17, s2, v17
	global_load_dwordx4 v[64:67], v[16:17], off
	v_mad_u64_u32 v[16:17], s[4:5], s12, v2, v[16:17]
	v_add_u32_e32 v17, s2, v17
	;; [unrolled: 3-line block ×4, first 2 shown]
	v_mad_u64_u32 v[22:23], s[4:5], s12, v2, v[16:17]
	v_add_u32_e32 v23, s2, v23
	s_movk_i32 s3, 0x5000
	global_load_dwordx4 v[76:79], v[16:17], off
	global_load_dwordx4 v[80:83], v[22:23], off
	v_add_co_u32_e32 v86, vcc, s3, v20
	v_mad_u64_u32 v[22:23], s[4:5], s12, v2, v[22:23]
	s_nop 0
	v_addc_co_u32_e32 v87, vcc, 0, v21, vcc
	global_load_dwordx4 v[24:27], v[84:85], off offset:3328
	global_load_dwordx4 v[16:19], v[86:87], off offset:1696
	v_add_u32_e32 v23, s2, v23
	s_movk_i32 s2, 0x6000
	v_add_co_u32_e32 v20, vcc, s2, v20
	global_load_dwordx4 v[84:87], v[22:23], off
	s_nop 0
	v_addc_co_u32_e32 v21, vcc, 0, v21, vcc
	global_load_dwordx4 v[20:23], v[20:21], off offset:64
	s_load_dwordx4 s[4:7], s[6:7], 0x0
	s_mov_b32 s26, 0xf8bb580b
	s_mov_b32 s18, 0x43842ef
	;; [unrolled: 1-line block ×26, first 2 shown]
	v_mul_lo_u16_e32 v0, 11, v214
	s_waitcnt vmcnt(20)
	v_mul_f64 v[88:89], v[46:47], v[6:7]
	v_mul_f64 v[90:91], v[44:45], v[6:7]
	v_fmac_f64_e32 v[88:89], v[44:45], v[4:5]
	v_fma_f64 v[90:91], v[46:47], v[4:5], -v[90:91]
	ds_write_b128 v212, v[88:91]
	s_waitcnt vmcnt(19)
	v_accvgpr_write_b32 a0, v92
	v_accvgpr_write_b32 a1, v93
	s_waitcnt vmcnt(12)
	v_mul_f64 v[44:45], v[50:51], v[94:95]
	v_mul_f64 v[46:47], v[48:49], v[94:95]
	v_fmac_f64_e32 v[44:45], v[48:49], v[92:93]
	v_fma_f64 v[46:47], v[50:51], v[92:93], -v[46:47]
	ds_write_b128 v212, v[44:47] offset:2464
	s_waitcnt vmcnt(11)
	v_mul_f64 v[44:45], v[54:55], v[42:43]
	v_mul_f64 v[46:47], v[52:53], v[42:43]
	v_fmac_f64_e32 v[44:45], v[52:53], v[40:41]
	v_fma_f64 v[46:47], v[54:55], v[40:41], -v[46:47]
	ds_write_b128 v212, v[44:47] offset:4928
	;; [unrolled: 6-line block ×10, first 2 shown]
	s_waitcnt lgkmcnt(0)
	s_barrier
	ds_read_b128 v[48:51], v212
	ds_read_b128 v[72:75], v212 offset:2464
	ds_read_b128 v[76:79], v212 offset:4928
	;; [unrolled: 1-line block ×7, first 2 shown]
	s_waitcnt lgkmcnt(6)
	v_add_f64 v[44:45], v[48:49], v[72:73]
	v_add_f64 v[46:47], v[50:51], v[74:75]
	s_waitcnt lgkmcnt(5)
	v_add_f64 v[44:45], v[44:45], v[76:77]
	v_add_f64 v[46:47], v[46:47], v[78:79]
	s_waitcnt lgkmcnt(4)
	v_add_f64 v[44:45], v[44:45], v[68:69]
	ds_read_b128 v[84:87], v212 offset:19712
	ds_read_b128 v[80:83], v212 offset:22176
	v_add_f64 v[46:47], v[46:47], v[70:71]
	s_waitcnt lgkmcnt(5)
	v_add_f64 v[44:45], v[44:45], v[60:61]
	ds_read_b128 v[88:91], v212 offset:24640
	v_add_f64 v[46:47], v[46:47], v[62:63]
	s_waitcnt lgkmcnt(5)
	v_add_f64 v[44:45], v[44:45], v[52:53]
	v_add_f64 v[46:47], v[46:47], v[54:55]
	s_waitcnt lgkmcnt(4)
	v_add_f64 v[44:45], v[44:45], v[56:57]
	;; [unrolled: 3-line block ×5, first 2 shown]
	s_waitcnt lgkmcnt(0)
	v_add_f64 v[98:99], v[74:75], -v[90:91]
	v_accvgpr_write_b32 a2, v94
	v_accvgpr_write_b32 a3, v95
	v_add_f64 v[46:47], v[46:47], v[82:83]
	v_add_f64 v[44:45], v[44:45], v[88:89]
	;; [unrolled: 1-line block ×3, first 2 shown]
	v_add_f64 v[94:95], v[72:73], -v[88:89]
	v_add_f64 v[72:73], v[78:79], v[82:83]
	v_add_f64 v[78:79], v[78:79], -v[82:83]
	v_add_f64 v[82:83], v[68:69], v[84:85]
	;; [unrolled: 2-line block ×4, first 2 shown]
	v_add_f64 v[52:53], v[52:53], -v[56:57]
	v_mul_f64 v[56:57], v[98:99], s[26:27]
	v_mul_f64 v[68:69], v[98:99], s[20:21]
	;; [unrolled: 1-line block ×5, first 2 shown]
	v_add_f64 v[46:47], v[46:47], v[90:91]
	v_add_f64 v[92:93], v[74:75], v[90:91]
	;; [unrolled: 1-line block ×3, first 2 shown]
	v_add_f64 v[76:77], v[76:77], -v[80:81]
	v_add_f64 v[80:81], v[70:71], v[86:87]
	v_add_f64 v[86:87], v[70:71], -v[86:87]
	v_add_f64 v[90:91], v[60:61], v[64:65]
	;; [unrolled: 2-line block ×3, first 2 shown]
	v_add_f64 v[54:55], v[54:55], -v[58:59]
	v_fma_f64 v[58:59], v[96:97], s[14:15], -v[56:57]
	v_fmac_f64_e32 v[56:57], s[14:15], v[96:97]
	v_fma_f64 v[70:71], v[96:97], s[12:13], -v[68:69]
	v_fmac_f64_e32 v[68:69], s[12:13], v[96:97]
	;; [unrolled: 2-line block ×5, first 2 shown]
	v_mul_f64 v[96:97], v[94:95], s[26:27]
	v_fma_f64 v[110:111], s[14:15], v[92:93], v[96:97]
	v_mul_f64 v[112:113], v[94:95], s[20:21]
	v_mul_f64 v[116:117], v[94:95], s[18:19]
	v_mul_f64 v[120:121], v[94:95], s[22:23]
	v_mul_f64 v[94:95], v[94:95], s[28:29]
	v_add_f64 v[126:127], v[48:49], v[68:69]
	v_mul_f64 v[68:69], v[78:79], s[20:21]
	v_fma_f64 v[96:97], v[92:93], s[14:15], -v[96:97]
	v_fma_f64 v[114:115], s[12:13], v[92:93], v[112:113]
	v_fma_f64 v[112:113], v[92:93], s[12:13], -v[112:113]
	v_fma_f64 v[118:119], s[2:3], v[92:93], v[116:117]
	;; [unrolled: 2-line block ×4, first 2 shown]
	v_fma_f64 v[92:93], v[92:93], s[24:25], -v[94:95]
	v_add_f64 v[58:59], v[48:49], v[58:59]
	v_add_f64 v[94:95], v[50:51], v[110:111]
	;; [unrolled: 1-line block ×10, first 2 shown]
	v_fma_f64 v[48:49], v[74:75], s[12:13], -v[68:69]
	v_mul_f64 v[70:71], v[86:87], s[18:19]
	v_add_f64 v[134:135], v[50:51], v[92:93]
	v_add_f64 v[48:49], v[48:49], v[58:59]
	v_mul_f64 v[58:59], v[76:77], s[20:21]
	v_fma_f64 v[92:93], v[82:83], s[2:3], -v[70:71]
	v_add_f64 v[96:97], v[50:51], v[96:97]
	v_add_f64 v[114:115], v[50:51], v[114:115]
	;; [unrolled: 1-line block ×8, first 2 shown]
	v_fma_f64 v[50:51], s[12:13], v[72:73], v[58:59]
	v_add_f64 v[48:49], v[92:93], v[48:49]
	v_mul_f64 v[92:93], v[84:85], s[18:19]
	v_add_f64 v[50:51], v[50:51], v[94:95]
	v_fma_f64 v[94:95], s[2:3], v[80:81], v[92:93]
	v_add_f64 v[50:51], v[94:95], v[50:51]
	v_mul_f64 v[94:95], v[62:63], s[22:23]
	v_fma_f64 v[98:99], v[90:91], s[16:17], -v[94:95]
	v_add_f64 v[48:49], v[98:99], v[48:49]
	v_mul_f64 v[98:99], v[60:61], s[22:23]
	v_fma_f64 v[104:105], s[16:17], v[88:89], v[98:99]
	v_fmac_f64_e32 v[68:69], s[12:13], v[74:75]
	v_add_f64 v[50:51], v[104:105], v[50:51]
	v_mul_f64 v[104:105], v[54:55], s[28:29]
	v_add_f64 v[56:57], v[68:69], v[56:57]
	v_fma_f64 v[58:59], v[72:73], s[12:13], -v[58:59]
	v_fmac_f64_e32 v[70:71], s[2:3], v[82:83]
	v_fma_f64 v[108:109], v[66:67], s[24:25], -v[104:105]
	v_add_f64 v[58:59], v[58:59], v[96:97]
	v_add_f64 v[56:57], v[70:71], v[56:57]
	v_fma_f64 v[68:69], v[80:81], s[2:3], -v[92:93]
	v_fmac_f64_e32 v[94:95], s[16:17], v[90:91]
	v_add_f64 v[48:49], v[108:109], v[48:49]
	v_mul_f64 v[108:109], v[52:53], s[28:29]
	v_add_f64 v[58:59], v[68:69], v[58:59]
	v_add_f64 v[56:57], v[94:95], v[56:57]
	v_fma_f64 v[68:69], v[88:89], s[16:17], -v[98:99]
	v_fmac_f64_e32 v[104:105], s[24:25], v[66:67]
	v_add_f64 v[58:59], v[68:69], v[58:59]
	v_add_f64 v[68:69], v[104:105], v[56:57]
	v_fma_f64 v[56:57], v[64:65], s[24:25], -v[108:109]
	v_mul_f64 v[92:93], v[78:79], s[22:23]
	v_add_f64 v[70:71], v[56:57], v[58:59]
	v_fma_f64 v[56:57], v[74:75], s[16:17], -v[92:93]
	v_mul_f64 v[96:97], v[86:87], s[34:35]
	v_add_f64 v[56:57], v[56:57], v[110:111]
	v_mul_f64 v[94:95], v[76:77], s[22:23]
	v_fma_f64 v[98:99], v[82:83], s[24:25], -v[96:97]
	v_fma_f64 v[58:59], s[16:17], v[72:73], v[94:95]
	v_add_f64 v[56:57], v[98:99], v[56:57]
	v_mul_f64 v[98:99], v[84:85], s[34:35]
	v_add_f64 v[58:59], v[58:59], v[114:115]
	v_fma_f64 v[104:105], s[24:25], v[80:81], v[98:99]
	v_add_f64 v[58:59], v[104:105], v[58:59]
	v_mul_f64 v[104:105], v[62:63], s[36:37]
	v_fma_f64 v[136:137], s[24:25], v[64:65], v[108:109]
	v_fma_f64 v[108:109], v[90:91], s[2:3], -v[104:105]
	v_add_f64 v[56:57], v[108:109], v[56:57]
	v_mul_f64 v[108:109], v[60:61], s[36:37]
	v_fma_f64 v[110:111], s[2:3], v[88:89], v[108:109]
	v_fmac_f64_e32 v[92:93], s[16:17], v[74:75]
	v_add_f64 v[58:59], v[110:111], v[58:59]
	v_mul_f64 v[110:111], v[54:55], s[30:31]
	v_add_f64 v[92:93], v[92:93], v[126:127]
	v_fma_f64 v[94:95], v[72:73], s[16:17], -v[94:95]
	v_fmac_f64_e32 v[96:97], s[24:25], v[82:83]
	v_fma_f64 v[114:115], v[66:67], s[14:15], -v[110:111]
	v_add_f64 v[94:95], v[94:95], v[112:113]
	v_add_f64 v[92:93], v[96:97], v[92:93]
	v_fma_f64 v[96:97], v[80:81], s[24:25], -v[98:99]
	v_add_f64 v[56:57], v[114:115], v[56:57]
	v_mul_f64 v[114:115], v[52:53], s[30:31]
	v_add_f64 v[94:95], v[96:97], v[94:95]
	v_fmac_f64_e32 v[104:105], s[2:3], v[90:91]
	v_fma_f64 v[96:97], v[88:89], s[2:3], -v[108:109]
	v_add_f64 v[92:93], v[104:105], v[92:93]
	v_add_f64 v[94:95], v[96:97], v[94:95]
	v_fma_f64 v[96:97], v[64:65], s[14:15], -v[114:115]
	v_mul_f64 v[104:105], v[78:79], s[34:35]
	s_mov_b32 s21, 0x3fed1bb4
	v_fmac_f64_e32 v[110:111], s[14:15], v[66:67]
	v_add_f64 v[94:95], v[96:97], v[94:95]
	v_fma_f64 v[96:97], v[74:75], s[24:25], -v[104:105]
	v_mul_f64 v[108:109], v[86:87], s[20:21]
	v_add_f64 v[92:93], v[110:111], v[92:93]
	v_add_f64 v[96:97], v[96:97], v[102:103]
	v_mul_f64 v[102:103], v[76:77], s[34:35]
	v_fma_f64 v[110:111], v[82:83], s[12:13], -v[108:109]
	v_fma_f64 v[98:99], s[24:25], v[72:73], v[102:103]
	v_add_f64 v[96:97], v[110:111], v[96:97]
	v_mul_f64 v[110:111], v[84:85], s[20:21]
	v_add_f64 v[98:99], v[98:99], v[118:119]
	v_fma_f64 v[112:113], s[12:13], v[80:81], v[110:111]
	v_add_f64 v[98:99], v[112:113], v[98:99]
	v_mul_f64 v[112:113], v[62:63], s[26:27]
	v_add_f64 v[50:51], v[136:137], v[50:51]
	v_fma_f64 v[136:137], s[14:15], v[64:65], v[114:115]
	v_fma_f64 v[114:115], v[90:91], s[14:15], -v[112:113]
	v_add_f64 v[96:97], v[114:115], v[96:97]
	v_mul_f64 v[114:115], v[60:61], s[26:27]
	v_fma_f64 v[118:119], s[14:15], v[88:89], v[114:115]
	v_add_f64 v[98:99], v[118:119], v[98:99]
	v_mul_f64 v[118:119], v[54:55], s[22:23]
	v_fmac_f64_e32 v[104:105], s[24:25], v[74:75]
	v_fma_f64 v[102:103], v[72:73], s[24:25], -v[102:103]
	v_fma_f64 v[126:127], v[66:67], s[16:17], -v[118:119]
	v_add_f64 v[100:101], v[104:105], v[100:101]
	v_add_f64 v[102:103], v[102:103], v[116:117]
	v_fma_f64 v[104:105], v[80:81], s[12:13], -v[110:111]
	v_add_f64 v[96:97], v[126:127], v[96:97]
	v_mul_f64 v[126:127], v[52:53], s[22:23]
	v_fmac_f64_e32 v[108:109], s[12:13], v[82:83]
	v_add_f64 v[102:103], v[104:105], v[102:103]
	v_fma_f64 v[104:105], v[88:89], s[14:15], -v[114:115]
	v_add_f64 v[100:101], v[108:109], v[100:101]
	v_fmac_f64_e32 v[112:113], s[14:15], v[90:91]
	v_add_f64 v[102:103], v[104:105], v[102:103]
	v_fma_f64 v[104:105], v[64:65], s[16:17], -v[126:127]
	v_mul_f64 v[108:109], v[78:79], s[36:37]
	v_add_f64 v[100:101], v[112:113], v[100:101]
	v_add_f64 v[102:103], v[104:105], v[102:103]
	v_fma_f64 v[104:105], v[74:75], s[2:3], -v[108:109]
	v_mul_f64 v[112:113], v[86:87], s[26:27]
	v_add_f64 v[104:105], v[104:105], v[106:107]
	v_mul_f64 v[110:111], v[76:77], s[36:37]
	v_fma_f64 v[114:115], v[82:83], s[14:15], -v[112:113]
	v_fma_f64 v[106:107], s[2:3], v[72:73], v[110:111]
	v_add_f64 v[104:105], v[114:115], v[104:105]
	v_mul_f64 v[114:115], v[84:85], s[26:27]
	v_add_f64 v[106:107], v[106:107], v[122:123]
	v_fma_f64 v[116:117], s[14:15], v[80:81], v[114:115]
	v_fmac_f64_e32 v[118:119], s[16:17], v[66:67]
	v_add_f64 v[106:107], v[116:117], v[106:107]
	v_mul_f64 v[116:117], v[62:63], s[28:29]
	v_add_f64 v[100:101], v[118:119], v[100:101]
	v_fma_f64 v[118:119], v[90:91], s[24:25], -v[116:117]
	v_add_f64 v[104:105], v[118:119], v[104:105]
	v_mul_f64 v[118:119], v[60:61], s[28:29]
	v_fma_f64 v[122:123], s[24:25], v[88:89], v[118:119]
	v_fmac_f64_e32 v[108:109], s[2:3], v[74:75]
	v_add_f64 v[106:107], v[122:123], v[106:107]
	v_mul_f64 v[122:123], v[54:55], s[20:21]
	v_add_f64 v[108:109], v[108:109], v[128:129]
	v_fma_f64 v[110:111], v[72:73], s[2:3], -v[110:111]
	v_fmac_f64_e32 v[112:113], s[14:15], v[82:83]
	v_add_f64 v[58:59], v[136:137], v[58:59]
	v_fma_f64 v[136:137], s[16:17], v[64:65], v[126:127]
	v_fma_f64 v[126:127], v[66:67], s[12:13], -v[122:123]
	v_add_f64 v[110:111], v[110:111], v[120:121]
	v_add_f64 v[108:109], v[112:113], v[108:109]
	v_fma_f64 v[112:113], v[80:81], s[14:15], -v[114:115]
	v_add_f64 v[104:105], v[126:127], v[104:105]
	v_mul_f64 v[126:127], v[52:53], s[20:21]
	v_add_f64 v[110:111], v[112:113], v[110:111]
	v_fma_f64 v[112:113], v[88:89], s[24:25], -v[118:119]
	v_add_f64 v[110:111], v[112:113], v[110:111]
	v_fma_f64 v[112:113], v[64:65], s[12:13], -v[126:127]
	v_mul_f64 v[78:79], v[78:79], s[30:31]
	v_fmac_f64_e32 v[116:117], s[24:25], v[90:91]
	v_add_f64 v[110:111], v[112:113], v[110:111]
	v_fma_f64 v[112:113], v[74:75], s[14:15], -v[78:79]
	v_mul_f64 v[76:77], v[76:77], s[30:31]
	v_mul_f64 v[86:87], v[86:87], s[22:23]
	v_add_f64 v[108:109], v[116:117], v[108:109]
	v_add_f64 v[112:113], v[112:113], v[130:131]
	v_fma_f64 v[114:115], s[14:15], v[72:73], v[76:77]
	v_fma_f64 v[116:117], v[82:83], s[16:17], -v[86:87]
	v_mul_f64 v[84:85], v[84:85], s[22:23]
	v_add_f64 v[114:115], v[114:115], v[124:125]
	v_add_f64 v[112:113], v[116:117], v[112:113]
	v_fma_f64 v[116:117], s[16:17], v[80:81], v[84:85]
	v_add_f64 v[114:115], v[116:117], v[114:115]
	v_mul_f64 v[116:117], v[62:63], s[20:21]
	v_fma_f64 v[62:63], v[90:91], s[12:13], -v[116:117]
	v_add_f64 v[62:63], v[62:63], v[112:113]
	v_mul_f64 v[112:113], v[60:61], s[20:21]
	v_fmac_f64_e32 v[78:79], s[14:15], v[74:75]
	v_fma_f64 v[72:73], v[72:73], s[14:15], -v[76:77]
	v_fma_f64 v[60:61], s[12:13], v[88:89], v[112:113]
	v_mul_f64 v[54:55], v[54:55], s[18:19]
	v_add_f64 v[74:75], v[78:79], v[132:133]
	v_add_f64 v[72:73], v[72:73], v[134:135]
	v_fmac_f64_e32 v[86:87], s[16:17], v[82:83]
	v_fma_f64 v[76:77], v[80:81], s[16:17], -v[84:85]
	v_add_f64 v[98:99], v[136:137], v[98:99]
	v_fma_f64 v[136:137], s[12:13], v[64:65], v[126:127]
	v_fmac_f64_e32 v[122:123], s[12:13], v[66:67]
	v_add_f64 v[114:115], v[60:61], v[114:115]
	v_fma_f64 v[60:61], v[66:67], s[2:3], -v[54:55]
	v_mul_f64 v[52:53], v[52:53], s[18:19]
	v_add_f64 v[74:75], v[86:87], v[74:75]
	v_add_f64 v[72:73], v[76:77], v[72:73]
	v_fmac_f64_e32 v[116:117], s[12:13], v[90:91]
	v_fma_f64 v[76:77], v[88:89], s[12:13], -v[112:113]
	v_add_f64 v[106:107], v[136:137], v[106:107]
	v_add_f64 v[108:109], v[122:123], v[108:109]
	;; [unrolled: 1-line block ×3, first 2 shown]
	v_fma_f64 v[62:63], s[2:3], v[64:65], v[52:53]
	v_add_f64 v[74:75], v[116:117], v[74:75]
	v_add_f64 v[72:73], v[76:77], v[72:73]
	v_fmac_f64_e32 v[54:55], s[2:3], v[66:67]
	v_fma_f64 v[64:65], v[64:65], s[2:3], -v[52:53]
	v_lshlrev_b32_e32 v217, 4, v0
	v_add_f64 v[62:63], v[62:63], v[114:115]
	v_add_f64 v[52:53], v[54:55], v[74:75]
	;; [unrolled: 1-line block ×3, first 2 shown]
	s_barrier
	ds_write_b128 v217, v[44:47]
	ds_write_b128 v217, v[48:51] offset:16
	ds_write_b128 v217, v[56:59] offset:32
	ds_write_b128 v217, v[96:99] offset:48
	ds_write_b128 v217, v[104:107] offset:64
	ds_write_b128 v217, v[60:63] offset:80
	ds_write_b128 v217, v[52:55] offset:96
	ds_write_b128 v217, v[108:111] offset:112
	ds_write_b128 v217, v[100:103] offset:128
	ds_write_b128 v217, v[92:95] offset:144
	ds_write_b128 v217, v[68:71] offset:160
	s_waitcnt lgkmcnt(0)
	s_barrier
	ds_read_b128 v[76:79], v212
	ds_read_b128 v[80:83], v212 offset:2464
	ds_read_b128 v[88:91], v212 offset:16016
	;; [unrolled: 1-line block ×9, first 2 shown]
	s_load_dwordx2 s[12:13], s[0:1], 0x38
	s_movk_i32 s0, 0x4d
	v_cmp_gt_u16_e32 vcc, s0, v214
                                        ; implicit-def: $vgpr112_vgpr113
	s_and_saveexec_b64 s[0:1], vcc
	s_cbranch_execz .LBB0_3
; %bb.2:
	ds_read_b128 v[68:71], v212 offset:12320
	ds_read_b128 v[112:115], v212 offset:25872
.LBB0_3:
	s_or_b64 exec, exec, s[0:1]
	s_mov_b64 s[2:3], 0x134
	v_lshl_add_u64 v[44:45], v[214:215], 0, s[2:3]
	s_mov_b64 s[2:3], 0x1ce
	v_lshl_add_u64 v[46:47], v[214:215], 0, s[2:3]
	;; [unrolled: 2-line block ×3, first 2 shown]
	s_mov_b32 s2, 0xba2f
	v_mul_u32_u24_sdwa v0, v44, s2 dst_sel:DWORD dst_unused:UNUSED_PAD src0_sel:WORD_0 src1_sel:DWORD
	s_mov_b64 s[0:1], 0x9a
	v_lshrrev_b32_e32 v0, 19, v0
	v_mul_u32_u24_sdwa v3, v46, s2 dst_sel:DWORD dst_unused:UNUSED_PAD src0_sel:WORD_0 src1_sel:DWORD
	v_mul_lo_u16_e32 v1, 11, v0
	v_lshrrev_b32_e32 v3, 19, v3
	v_lshl_add_u64 v[116:117], v[214:215], 0, s[0:1]
	s_movk_i32 s0, 0x75
	v_sub_u16_e32 v1, v44, v1
	v_mul_lo_u16_e32 v44, 11, v3
	v_mul_lo_u16_sdwa v60, v214, s0 dst_sel:DWORD dst_unused:UNUSED_PAD src0_sel:BYTE_0 src1_sel:DWORD
	v_lshlrev_b32_e32 v2, 4, v1
	v_sub_u16_e32 v134, v46, v44
	v_sub_u16_sdwa v61, v214, v60 dst_sel:DWORD dst_unused:UNUSED_PAD src0_sel:DWORD src1_sel:BYTE_1
	v_lshlrev_b32_e32 v53, 4, v134
	global_load_dwordx4 v[48:51], v2, s[10:11]
	global_load_dwordx4 v[44:47], v53, s[10:11]
	v_mul_u32_u24_sdwa v2, v52, s2 dst_sel:DWORD dst_unused:UNUSED_PAD src0_sel:WORD_0 src1_sel:DWORD
	v_lshrrev_b16_e32 v61, 1, v61
	v_lshrrev_b32_e32 v2, 19, v2
	v_and_b32_e32 v61, 0x7f, v61
	v_mul_lo_u16_e32 v53, 11, v2
	v_add_u16_sdwa v60, v61, v60 dst_sel:DWORD dst_unused:UNUSED_PAD src0_sel:DWORD src1_sel:BYTE_1
	v_sub_u16_e32 v135, v52, v53
	v_add_u16_e32 v53, 0x302, v214
	v_lshrrev_b16_e32 v117, 3, v60
	v_mul_u32_u24_e32 v54, 0xba2f, v53
	v_mul_lo_u16_e32 v60, 11, v117
	v_lshrrev_b32_e32 v54, 19, v54
	v_sub_u16_e32 v60, v214, v60
	v_accvgpr_write_b32 a4, v54
	v_mul_lo_u16_e32 v54, 11, v54
	v_and_b32_e32 v136, 0xff, v60
	v_mul_u32_u24_sdwa v61, v116, s2 dst_sel:DWORD dst_unused:UNUSED_PAD src0_sel:WORD_0 src1_sel:DWORD
	v_lshlrev_b32_e32 v52, 4, v135
	v_sub_u16_e32 v53, v53, v54
	v_lshlrev_b32_e32 v60, 4, v136
	v_lshrrev_b32_e32 v137, 19, v61
	global_load_dwordx4 v[56:59], v52, s[10:11]
	global_load_dwordx4 v[64:67], v60, s[10:11]
	v_lshlrev_b32_e32 v52, 4, v53
	v_mul_lo_u16_e32 v61, 11, v137
	v_accvgpr_write_b32 a5, v53
	global_load_dwordx4 v[52:55], v52, s[10:11]
	v_sub_u16_e32 v138, v116, v61
	v_lshlrev_b32_e32 v60, 4, v138
	global_load_dwordx4 v[60:63], v60, s[10:11]
	s_waitcnt lgkmcnt(0)
	s_barrier
	v_mad_legacy_u16 v0, v0, 22, v1
	v_lshlrev_b32_e32 v0, 4, v0
	v_accvgpr_write_b32 a8, v0
	s_waitcnt vmcnt(5)
	v_mul_f64 v[120:121], v[100:101], v[50:51]
	s_waitcnt vmcnt(4)
	v_mul_f64 v[122:123], v[110:111], v[46:47]
	v_mul_f64 v[124:125], v[108:109], v[46:47]
	v_fma_f64 v[108:109], v[108:109], v[44:45], -v[122:123]
	v_mul_f64 v[118:119], v[102:103], v[50:51]
	v_fmac_f64_e32 v[120:121], v[102:103], v[48:49]
	v_fmac_f64_e32 v[124:125], v[110:111], v[44:45]
	v_fma_f64 v[100:101], v[100:101], v[48:49], -v[118:119]
	v_add_f64 v[102:103], v[98:99], -v[120:121]
	v_add_f64 v[100:101], v[96:97], -v[100:101]
	v_fma_f64 v[96:97], v[96:97], 2.0, -v[100:101]
	v_fma_f64 v[98:99], v[98:99], 2.0, -v[102:103]
	s_waitcnt vmcnt(3)
	v_mul_f64 v[126:127], v[106:107], v[58:59]
	v_mul_f64 v[128:129], v[104:105], v[58:59]
	v_fma_f64 v[110:111], v[104:105], v[56:57], -v[126:127]
	v_add_f64 v[104:105], v[84:85], -v[108:109]
	s_waitcnt vmcnt(2)
	v_mul_f64 v[108:109], v[94:95], v[66:67]
	s_waitcnt vmcnt(1)
	v_mul_f64 v[132:133], v[112:113], v[54:55]
	v_mul_f64 v[130:131], v[114:115], v[54:55]
	v_fmac_f64_e32 v[132:133], v[114:115], v[52:53]
	v_mul_f64 v[114:115], v[92:93], v[66:67]
	v_fma_f64 v[112:113], v[112:113], v[52:53], -v[130:131]
	s_waitcnt vmcnt(0)
	v_mul_f64 v[118:119], v[90:91], v[62:63]
	v_mul_f64 v[120:121], v[88:89], v[62:63]
	v_fma_f64 v[92:93], v[92:93], v[64:65], -v[108:109]
	v_fmac_f64_e32 v[114:115], v[94:95], v[64:65]
	v_fma_f64 v[94:95], v[88:89], v[60:61], -v[118:119]
	v_fmac_f64_e32 v[120:121], v[90:91], v[60:61]
	v_add_f64 v[88:89], v[76:77], -v[92:93]
	v_add_f64 v[90:91], v[78:79], -v[114:115]
	;; [unrolled: 1-line block ×3, first 2 shown]
	v_mul_u32_u24_e32 v112, 22, v117
	v_fma_f64 v[76:77], v[76:77], 2.0, -v[88:89]
	v_fma_f64 v[78:79], v[78:79], 2.0, -v[90:91]
	v_add_lshl_u32 v112, v112, v136, 4
	v_add_f64 v[92:93], v[80:81], -v[94:95]
	v_add_f64 v[94:95], v[82:83], -v[120:121]
	ds_write_b128 v112, v[76:79]
	v_mad_legacy_u16 v76, v137, 22, v138
	v_fma_f64 v[80:81], v[80:81], 2.0, -v[92:93]
	v_fma_f64 v[82:83], v[82:83], 2.0, -v[94:95]
	v_lshlrev_b32_e32 v76, 4, v76
	v_fmac_f64_e32 v[128:129], v[106:107], v[56:57]
	ds_write_b128 v112, v[88:91] offset:176
	ds_write_b128 v76, v[80:83]
	ds_write_b128 v76, v[92:95] offset:176
	ds_write_b128 v0, v[96:99]
	ds_write_b128 v0, v[100:103] offset:176
	v_mad_legacy_u16 v0, v3, 22, v134
	v_add_f64 v[106:107], v[86:87], -v[124:125]
	v_add_f64 v[108:109], v[72:73], -v[110:111]
	;; [unrolled: 1-line block ×3, first 2 shown]
	v_lshlrev_b32_e32 v225, 4, v0
	v_mad_legacy_u16 v0, v2, 22, v135
	v_fma_f64 v[84:85], v[84:85], 2.0, -v[104:105]
	v_fma_f64 v[86:87], v[86:87], 2.0, -v[106:107]
	;; [unrolled: 1-line block ×4, first 2 shown]
	v_add_f64 v[158:159], v[70:71], -v[132:133]
	v_accvgpr_write_b32 a6, v112
	v_accvgpr_write_b32 a7, v76
	v_lshlrev_b32_e32 v215, 4, v0
	ds_write_b128 v225, v[84:87]
	ds_write_b128 v225, v[104:107] offset:176
	ds_write_b128 v215, v[72:75]
	ds_write_b128 v215, v[108:111] offset:176
	s_and_saveexec_b64 s[0:1], vcc
	s_cbranch_execz .LBB0_5
; %bb.4:
	v_accvgpr_read_b32 v0, a4
	v_accvgpr_read_b32 v1, a5
	v_mad_legacy_u16 v0, v0, 22, v1
	v_fma_f64 v[70:71], v[70:71], 2.0, -v[158:159]
	v_fma_f64 v[68:69], v[68:69], 2.0, -v[156:157]
	v_lshlrev_b32_e32 v0, 4, v0
	ds_write_b128 v0, v[68:71]
	ds_write_b128 v0, v[156:159] offset:176
.LBB0_5:
	s_or_b64 exec, exec, s[0:1]
	v_lshrrev_b16_e32 v0, 1, v214
	v_and_b32_e32 v0, 0x7f, v0
	v_mul_lo_u16_e32 v0, 0xbb, v0
	v_lshrrev_b16_e32 v117, 11, v0
	v_mul_lo_u16_e32 v0, 22, v117
	v_sub_u16_e32 v0, v214, v0
	v_and_b32_e32 v134, 0xff, v0
	s_movk_i32 s0, 0xa0
	v_mov_b64_e32 v[68:69], s[10:11]
	v_mad_u64_u32 v[68:69], s[0:1], v134, s0, v[68:69]
	s_waitcnt lgkmcnt(0)
	s_barrier
	global_load_dwordx4 v[96:99], v[68:69], off offset:176
	global_load_dwordx4 v[92:95], v[68:69], off offset:192
	;; [unrolled: 1-line block ×10, first 2 shown]
	ds_read_b128 v[136:139], v212
	ds_read_b128 v[68:71], v212 offset:2464
	ds_read_b128 v[80:83], v212 offset:4928
	;; [unrolled: 1-line block ×10, first 2 shown]
	s_mov_b32 s24, 0xf8bb580b
	s_mov_b32 s16, 0x43842ef
	;; [unrolled: 1-line block ×21, first 2 shown]
	v_mul_u32_u24_e32 v0, 0xf2, v117
	v_add_lshl_u32 v224, v0, v134, 4
	s_waitcnt lgkmcnt(0)
	s_barrier
	s_waitcnt lgkmcnt(0)
                                        ; implicit-def: $vgpr204_vgpr205
                                        ; implicit-def: $vgpr208_vgpr209
	s_waitcnt vmcnt(9)
	v_mul_f64 v[172:173], v[70:71], v[98:99]
	v_mul_f64 v[174:175], v[68:69], v[98:99]
	s_waitcnt vmcnt(8)
	v_mul_f64 v[176:177], v[82:83], v[94:95]
	v_mul_f64 v[178:179], v[80:81], v[94:95]
	;; [unrolled: 3-line block ×3, first 2 shown]
	v_fma_f64 v[68:69], v[68:69], v[96:97], -v[172:173]
	v_fmac_f64_e32 v[174:175], v[70:71], v[96:97]
	v_mul_f64 v[180:181], v[120:121], v[86:87]
	s_waitcnt vmcnt(0)
	v_mul_f64 v[196:197], v[170:171], v[126:127]
	v_mul_f64 v[122:123], v[118:119], v[86:87]
	v_mul_f64 v[186:187], v[150:151], v[110:111]
	v_mul_f64 v[188:189], v[154:155], v[106:107]
	v_fma_f64 v[172:173], v[80:81], v[92:93], -v[176:177]
	v_fmac_f64_e32 v[178:179], v[82:83], v[92:93]
	v_fma_f64 v[80:81], v[144:145], v[112:113], -v[184:185]
	v_fmac_f64_e32 v[76:77], v[146:147], v[112:113]
	v_fma_f64 v[70:71], v[168:169], v[124:125], -v[196:197]
	v_add_f64 v[144:145], v[136:137], v[68:69]
	v_add_f64 v[146:147], v[138:139], v[174:175]
	v_mul_f64 v[182:183], v[142:143], v[74:75]
	v_mul_f64 v[88:89], v[140:141], v[74:75]
	;; [unrolled: 1-line block ×4, first 2 shown]
	v_fma_f64 v[176:177], v[118:119], v[84:85], -v[180:181]
	v_fmac_f64_e32 v[122:123], v[120:121], v[84:85]
	v_fma_f64 v[82:83], v[148:149], v[108:109], -v[186:187]
	v_fma_f64 v[120:121], v[152:153], v[104:105], -v[188:189]
	v_add_f64 v[148:149], v[68:69], v[70:71]
	v_add_f64 v[152:153], v[68:69], -v[70:71]
	v_add_f64 v[68:69], v[144:145], v[172:173]
	v_add_f64 v[144:145], v[146:147], v[178:179]
	v_fma_f64 v[118:119], v[140:141], v[72:73], -v[182:183]
	v_fmac_f64_e32 v[88:89], v[142:143], v[72:73]
	v_add_f64 v[68:69], v[68:69], v[176:177]
	v_add_f64 v[144:145], v[144:145], v[122:123]
	;; [unrolled: 1-line block ×4, first 2 shown]
	v_fmac_f64_e32 v[78:79], v[150:151], v[108:109]
	v_add_f64 v[68:69], v[68:69], v[80:81]
	v_add_f64 v[144:145], v[144:145], v[76:77]
	v_mul_f64 v[190:191], v[162:163], v[102:103]
	v_mul_f64 v[132:133], v[160:161], v[102:103]
	v_fmac_f64_e32 v[90:91], v[154:155], v[104:105]
	v_add_f64 v[68:69], v[68:69], v[82:83]
	v_add_f64 v[144:145], v[144:145], v[78:79]
	v_mul_f64 v[192:193], v[166:167], v[130:131]
	v_mul_f64 v[194:195], v[164:165], v[130:131]
	;; [unrolled: 1-line block ×3, first 2 shown]
	v_fma_f64 v[140:141], v[160:161], v[100:101], -v[190:191]
	v_fmac_f64_e32 v[132:133], v[162:163], v[100:101]
	v_add_f64 v[68:69], v[68:69], v[120:121]
	v_add_f64 v[144:145], v[144:145], v[90:91]
	v_fma_f64 v[142:143], v[164:165], v[128:129], -v[192:193]
	v_fmac_f64_e32 v[194:195], v[166:167], v[128:129]
	v_fmac_f64_e32 v[198:199], v[170:171], v[124:125]
	v_add_f64 v[68:69], v[68:69], v[140:141]
	v_add_f64 v[144:145], v[144:145], v[132:133]
	v_add_f64 v[154:155], v[174:175], -v[198:199]
	v_add_f64 v[68:69], v[68:69], v[142:143]
	v_add_f64 v[144:145], v[144:145], v[194:195]
	;; [unrolled: 1-line block ×5, first 2 shown]
	v_mul_f64 v[144:145], v[154:155], s[24:25]
	v_mul_f64 v[160:161], v[152:153], s[24:25]
	;; [unrolled: 1-line block ×10, first 2 shown]
	v_fma_f64 v[146:147], v[148:149], s[18:19], -v[144:145]
	v_fma_f64 v[162:163], s[18:19], v[150:151], v[160:161]
	v_fmac_f64_e32 v[144:145], s[18:19], v[148:149]
	v_fma_f64 v[160:161], v[150:151], s[18:19], -v[160:161]
	v_fma_f64 v[166:167], v[148:149], s[0:1], -v[164:165]
	v_fma_f64 v[170:171], s[0:1], v[150:151], v[168:169]
	v_fmac_f64_e32 v[164:165], s[0:1], v[148:149]
	v_fma_f64 v[168:169], v[150:151], s[0:1], -v[168:169]
	;; [unrolled: 4-line block ×5, first 2 shown]
	v_add_f64 v[152:153], v[178:179], -v[194:195]
	v_add_f64 v[146:147], v[136:137], v[146:147]
	v_add_f64 v[162:163], v[138:139], v[162:163]
	;; [unrolled: 1-line block ×21, first 2 shown]
	v_mul_f64 v[154:155], v[152:153], s[14:15]
	v_add_f64 v[142:143], v[172:173], -v[142:143]
	v_fma_f64 v[172:173], v[148:149], s[0:1], -v[154:155]
	v_add_f64 v[150:151], v[178:179], v[194:195]
	v_add_f64 v[146:147], v[172:173], v[146:147]
	v_mul_f64 v[172:173], v[142:143], s[14:15]
	v_fmac_f64_e32 v[154:155], s[0:1], v[148:149]
	v_add_f64 v[144:145], v[154:155], v[144:145]
	v_fma_f64 v[154:155], v[150:151], s[0:1], -v[172:173]
	v_add_f64 v[154:155], v[154:155], v[160:161]
	v_mul_f64 v[160:161], v[152:153], s[22:23]
	v_fma_f64 v[178:179], s[0:1], v[150:151], v[172:173]
	v_fma_f64 v[172:173], v[148:149], s[20:21], -v[160:161]
	v_add_f64 v[166:167], v[172:173], v[166:167]
	v_mul_f64 v[172:173], v[142:143], s[22:23]
	v_fmac_f64_e32 v[160:161], s[20:21], v[148:149]
	v_add_f64 v[160:161], v[160:161], v[164:165]
	v_fma_f64 v[164:165], v[150:151], s[20:21], -v[172:173]
	v_add_f64 v[162:163], v[178:179], v[162:163]
	v_fma_f64 v[178:179], s[20:21], v[150:151], v[172:173]
	v_add_f64 v[164:165], v[164:165], v[168:169]
	v_mul_f64 v[168:169], v[152:153], s[36:37]
	v_add_f64 v[170:171], v[178:179], v[170:171]
	v_fma_f64 v[172:173], v[148:149], s[26:27], -v[168:169]
	v_mul_f64 v[178:179], v[142:143], s[36:37]
	v_fmac_f64_e32 v[168:169], s[26:27], v[148:149]
	v_add_f64 v[172:173], v[172:173], v[180:181]
	v_fma_f64 v[180:181], s[26:27], v[150:151], v[178:179]
	v_add_f64 v[168:169], v[168:169], v[174:175]
	v_fma_f64 v[174:175], v[150:151], s[26:27], -v[178:179]
	v_mul_f64 v[178:179], v[152:153], s[34:35]
	v_add_f64 v[180:181], v[180:181], v[184:185]
	v_add_f64 v[174:175], v[174:175], v[182:183]
	v_fma_f64 v[182:183], v[148:149], s[2:3], -v[178:179]
	v_mul_f64 v[184:185], v[142:143], s[34:35]
	v_add_f64 v[182:183], v[182:183], v[188:189]
	v_fma_f64 v[188:189], s[2:3], v[150:151], v[184:185]
	v_fmac_f64_e32 v[178:179], s[2:3], v[148:149]
	v_fma_f64 v[184:185], v[150:151], s[2:3], -v[184:185]
	v_mul_f64 v[152:153], v[152:153], s[30:31]
	v_mul_f64 v[142:143], v[142:143], s[30:31]
	v_add_f64 v[178:179], v[178:179], v[186:187]
	v_add_f64 v[184:185], v[184:185], v[190:191]
	v_fma_f64 v[186:187], v[148:149], s[18:19], -v[152:153]
	v_fma_f64 v[190:191], s[18:19], v[150:151], v[142:143]
	v_fmac_f64_e32 v[152:153], s[18:19], v[148:149]
	v_fma_f64 v[142:143], v[150:151], s[18:19], -v[142:143]
	v_add_f64 v[148:149], v[122:123], v[132:133]
	v_add_f64 v[122:123], v[122:123], -v[132:133]
	v_add_f64 v[138:139], v[142:143], v[138:139]
	v_add_f64 v[142:143], v[176:177], v[140:141]
	v_mul_f64 v[132:133], v[122:123], s[16:17]
	v_add_f64 v[140:141], v[176:177], -v[140:141]
	v_fma_f64 v[150:151], v[142:143], s[2:3], -v[132:133]
	v_add_f64 v[146:147], v[150:151], v[146:147]
	v_mul_f64 v[150:151], v[140:141], s[16:17]
	v_fmac_f64_e32 v[132:133], s[2:3], v[142:143]
	v_add_f64 v[136:137], v[152:153], v[136:137]
	v_fma_f64 v[152:153], s[2:3], v[148:149], v[150:151]
	v_add_f64 v[132:133], v[132:133], v[144:145]
	v_fma_f64 v[144:145], v[148:149], s[2:3], -v[150:151]
	v_mul_f64 v[150:151], v[122:123], s[36:37]
	v_add_f64 v[152:153], v[152:153], v[162:163]
	v_add_f64 v[144:145], v[144:145], v[154:155]
	v_fma_f64 v[154:155], v[142:143], s[26:27], -v[150:151]
	v_mul_f64 v[162:163], v[140:141], s[36:37]
	v_fmac_f64_e32 v[150:151], s[26:27], v[142:143]
	s_mov_b32 s15, 0x3fed1bb4
	v_add_f64 v[154:155], v[154:155], v[166:167]
	v_fma_f64 v[166:167], s[26:27], v[148:149], v[162:163]
	v_add_f64 v[150:151], v[150:151], v[160:161]
	v_fma_f64 v[160:161], v[148:149], s[26:27], -v[162:163]
	v_mul_f64 v[162:163], v[122:123], s[14:15]
	v_add_f64 v[166:167], v[166:167], v[170:171]
	v_add_f64 v[160:161], v[160:161], v[164:165]
	v_fma_f64 v[164:165], v[142:143], s[0:1], -v[162:163]
	v_mul_f64 v[170:171], v[140:141], s[14:15]
	v_fmac_f64_e32 v[162:163], s[0:1], v[142:143]
	v_add_f64 v[164:165], v[164:165], v[172:173]
	v_fma_f64 v[172:173], s[0:1], v[148:149], v[170:171]
	v_add_f64 v[162:163], v[162:163], v[168:169]
	v_fma_f64 v[168:169], v[148:149], s[0:1], -v[170:171]
	v_mul_f64 v[170:171], v[122:123], s[24:25]
	v_add_f64 v[168:169], v[168:169], v[174:175]
	v_fma_f64 v[174:175], v[142:143], s[18:19], -v[170:171]
	v_fmac_f64_e32 v[170:171], s[18:19], v[142:143]
	v_mul_f64 v[122:123], v[122:123], s[22:23]
	v_mul_f64 v[176:177], v[140:141], s[24:25]
	v_add_f64 v[170:171], v[170:171], v[178:179]
	v_fma_f64 v[178:179], v[142:143], s[20:21], -v[122:123]
	v_mul_f64 v[140:141], v[140:141], s[22:23]
	v_fmac_f64_e32 v[122:123], s[20:21], v[142:143]
	v_add_f64 v[174:175], v[174:175], v[182:183]
	v_fma_f64 v[182:183], s[20:21], v[148:149], v[140:141]
	v_add_f64 v[122:123], v[122:123], v[136:137]
	v_fma_f64 v[136:137], v[148:149], s[20:21], -v[140:141]
	v_add_f64 v[140:141], v[88:89], v[90:91]
	v_add_f64 v[88:89], v[88:89], -v[90:91]
	v_add_f64 v[136:137], v[136:137], v[138:139]
	v_add_f64 v[138:139], v[118:119], v[120:121]
	v_add_f64 v[118:119], v[118:119], -v[120:121]
	v_mul_f64 v[90:91], v[88:89], s[22:23]
	v_fma_f64 v[120:121], v[138:139], s[20:21], -v[90:91]
	v_mul_f64 v[142:143], v[118:119], s[22:23]
	v_fmac_f64_e32 v[90:91], s[20:21], v[138:139]
	v_add_f64 v[120:121], v[120:121], v[146:147]
	v_fma_f64 v[146:147], s[20:21], v[140:141], v[142:143]
	v_add_f64 v[90:91], v[90:91], v[132:133]
	v_fma_f64 v[132:133], v[140:141], s[20:21], -v[142:143]
	v_mul_f64 v[142:143], v[88:89], s[34:35]
	v_add_f64 v[172:173], v[172:173], v[180:181]
	v_fma_f64 v[180:181], s[18:19], v[148:149], v[176:177]
	v_fma_f64 v[176:177], v[148:149], s[18:19], -v[176:177]
	v_add_f64 v[132:133], v[132:133], v[144:145]
	v_fma_f64 v[144:145], v[138:139], s[2:3], -v[142:143]
	v_mul_f64 v[148:149], v[118:119], s[34:35]
	v_fmac_f64_e32 v[142:143], s[2:3], v[138:139]
	v_add_f64 v[146:147], v[146:147], v[152:153]
	v_fma_f64 v[152:153], s[2:3], v[140:141], v[148:149]
	v_add_f64 v[142:143], v[142:143], v[150:151]
	v_fma_f64 v[148:149], v[140:141], s[2:3], -v[148:149]
	v_mul_f64 v[150:151], v[88:89], s[24:25]
	v_add_f64 v[144:145], v[144:145], v[154:155]
	v_add_f64 v[148:149], v[148:149], v[160:161]
	v_fma_f64 v[154:155], v[138:139], s[18:19], -v[150:151]
	v_mul_f64 v[160:161], v[118:119], s[24:25]
	v_fmac_f64_e32 v[150:151], s[18:19], v[138:139]
	v_add_f64 v[154:155], v[154:155], v[164:165]
	v_fma_f64 v[164:165], s[18:19], v[140:141], v[160:161]
	v_add_f64 v[150:151], v[150:151], v[162:163]
	v_mul_f64 v[162:163], v[88:89], s[28:29]
	v_add_f64 v[172:173], v[164:165], v[172:173]
	v_fma_f64 v[164:165], v[138:139], s[26:27], -v[162:163]
	v_add_f64 v[176:177], v[176:177], v[184:185]
	v_add_f64 v[184:185], v[164:165], v[174:175]
	v_mul_f64 v[164:165], v[118:119], s[28:29]
	v_add_f64 v[152:153], v[152:153], v[166:167]
	v_fma_f64 v[166:167], s[26:27], v[140:141], v[164:165]
	v_fma_f64 v[164:165], v[140:141], s[26:27], -v[164:165]
	v_mul_f64 v[88:89], v[88:89], s[14:15]
	v_add_f64 v[176:177], v[164:165], v[176:177]
	v_fma_f64 v[164:165], v[138:139], s[0:1], -v[88:89]
	v_mul_f64 v[118:119], v[118:119], s[14:15]
	v_fmac_f64_e32 v[88:89], s[0:1], v[138:139]
	v_add_f64 v[186:187], v[186:187], v[196:197]
	v_add_f64 v[122:123], v[88:89], v[122:123]
	v_fma_f64 v[88:89], v[140:141], s[0:1], -v[118:119]
	v_add_f64 v[178:179], v[178:179], v[186:187]
	v_add_f64 v[186:187], v[88:89], v[136:137]
	v_add_f64 v[136:137], v[76:77], -v[78:79]
	v_add_f64 v[188:189], v[188:189], v[192:193]
	v_add_f64 v[190:191], v[190:191], v[198:199]
	v_fma_f64 v[160:161], v[140:141], s[18:19], -v[160:161]
	v_fmac_f64_e32 v[162:163], s[26:27], v[138:139]
	v_add_f64 v[178:179], v[164:165], v[178:179]
	v_fma_f64 v[164:165], s[0:1], v[140:141], v[118:119]
	v_add_f64 v[140:141], v[80:81], v[82:83]
	v_add_f64 v[138:139], v[80:81], -v[82:83]
	v_mul_f64 v[80:81], v[136:137], s[28:29]
	v_add_f64 v[180:181], v[180:181], v[188:189]
	v_add_f64 v[182:183], v[182:183], v[190:191]
	;; [unrolled: 1-line block ×3, first 2 shown]
	v_fma_f64 v[76:77], v[140:141], s[26:27], -v[80:81]
	v_mul_f64 v[82:83], v[138:139], s[28:29]
	v_fmac_f64_e32 v[80:81], s[26:27], v[140:141]
	v_add_f64 v[182:183], v[164:165], v[182:183]
	v_add_f64 v[164:165], v[80:81], v[90:91]
	v_fma_f64 v[80:81], v[188:189], s[26:27], -v[82:83]
	v_mul_f64 v[88:89], v[136:137], s[30:31]
	v_add_f64 v[180:181], v[166:167], v[180:181]
	v_add_f64 v[166:167], v[80:81], v[132:133]
	v_fma_f64 v[80:81], v[140:141], s[18:19], -v[88:89]
	v_mul_f64 v[90:91], v[138:139], s[30:31]
	v_fmac_f64_e32 v[88:89], s[18:19], v[140:141]
	v_add_f64 v[160:161], v[160:161], v[168:169]
	v_add_f64 v[76:77], v[76:77], v[120:121]
	;; [unrolled: 1-line block ×3, first 2 shown]
	v_fma_f64 v[88:89], v[188:189], s[18:19], -v[90:91]
	v_mul_f64 v[118:119], v[136:137], s[22:23]
	v_mul_f64 v[120:121], v[138:139], s[22:23]
	v_add_f64 v[162:163], v[162:163], v[170:171]
	v_fma_f64 v[78:79], s[26:27], v[188:189], v[82:83]
	v_fma_f64 v[82:83], s[18:19], v[188:189], v[90:91]
	v_add_f64 v[170:171], v[88:89], v[148:149]
	v_fma_f64 v[88:89], v[140:141], s[20:21], -v[118:119]
	v_fma_f64 v[90:91], s[20:21], v[188:189], v[120:121]
	v_fmac_f64_e32 v[118:119], s[20:21], v[140:141]
	v_add_f64 v[90:91], v[90:91], v[172:173]
	v_add_f64 v[172:173], v[118:119], v[150:151]
	v_fma_f64 v[118:119], v[188:189], s[20:21], -v[120:121]
	v_mul_f64 v[132:133], v[136:137], s[14:15]
	v_add_f64 v[174:175], v[118:119], v[160:161]
	v_fma_f64 v[118:119], v[140:141], s[0:1], -v[132:133]
	v_mul_f64 v[142:143], v[138:139], s[14:15]
	v_fmac_f64_e32 v[132:133], s[0:1], v[140:141]
	v_add_f64 v[160:161], v[132:133], v[162:163]
	v_fma_f64 v[132:133], v[188:189], s[0:1], -v[142:143]
	v_add_f64 v[162:163], v[132:133], v[176:177]
	v_mul_f64 v[132:133], v[136:137], s[16:17]
	v_fma_f64 v[120:121], s[0:1], v[188:189], v[142:143]
	v_fma_f64 v[136:137], v[140:141], s[2:3], -v[132:133]
	v_mul_f64 v[142:143], v[138:139], s[16:17]
	v_fmac_f64_e32 v[132:133], s[2:3], v[140:141]
	v_fma_f64 v[138:139], s[2:3], v[188:189], v[142:143]
	v_add_f64 v[140:141], v[132:133], v[122:123]
	v_fma_f64 v[122:123], v[188:189], s[2:3], -v[142:143]
	v_add_f64 v[78:79], v[78:79], v[146:147]
	v_add_f64 v[80:81], v[80:81], v[144:145]
	;; [unrolled: 1-line block ×9, first 2 shown]
	ds_write_b128 v224, v[68:71]
	ds_write_b128 v224, v[76:79] offset:352
	ds_write_b128 v224, v[80:83] offset:704
	;; [unrolled: 1-line block ×10, first 2 shown]
	s_waitcnt lgkmcnt(0)
	s_barrier
	ds_read_b128 v[176:179], v212
	ds_read_b128 v[200:203], v212 offset:3872
	ds_read_b128 v[196:199], v212 offset:7744
	;; [unrolled: 1-line block ×6, first 2 shown]
	s_movk_i32 s0, 0x58
	v_cmp_gt_u16_e64 s[0:1], s0, v214
	s_and_saveexec_b64 s[2:3], s[0:1]
	s_cbranch_execz .LBB0_7
; %bb.6:
	ds_read_b128 v[160:163], v212 offset:2464
	ds_read_b128 v[172:175], v212 offset:6336
	;; [unrolled: 1-line block ×7, first 2 shown]
.LBB0_7:
	s_or_b64 exec, exec, s[2:3]
	s_movk_i32 s2, 0x60
	v_mov_b64_e32 v[68:69], s[10:11]
	v_mad_u64_u32 v[68:69], s[2:3], v214, s2, v[68:69]
	global_load_dwordx4 v[144:147], v[68:69], off offset:3696
	global_load_dwordx4 v[140:143], v[68:69], off offset:3712
	;; [unrolled: 1-line block ×6, first 2 shown]
	v_add_u32_e32 v0, 0xffffffa8, v214
	v_cndmask_b32_e64 v0, v0, v116, s[0:1]
	v_mul_hi_i32_i24_e32 v69, 0x60, v0
	v_mul_i32_i24_e32 v68, 0x60, v0
	v_lshl_add_u64 v[120:121], s[10:11], 0, v[68:69]
	global_load_dwordx4 v[88:91], v[120:121], off offset:3696
	global_load_dwordx4 v[80:83], v[120:121], off offset:3712
	global_load_dwordx4 v[76:79], v[120:121], off offset:3728
	global_load_dwordx4 v[68:71], v[120:121], off offset:3744
	global_load_dwordx4 v[116:119], v[120:121], off offset:3760
	s_nop 0
	global_load_dwordx4 v[120:123], v[120:121], off offset:3776
	s_mov_b32 s16, 0xe976ee23
	s_mov_b32 s10, 0x37e14327
	;; [unrolled: 1-line block ×20, first 2 shown]
	s_waitcnt vmcnt(11) lgkmcnt(5)
	v_mul_f64 v[226:227], v[202:203], v[146:147]
	v_mul_f64 v[228:229], v[200:201], v[146:147]
	s_waitcnt vmcnt(10) lgkmcnt(4)
	v_mul_f64 v[230:231], v[198:199], v[142:143]
	v_mul_f64 v[232:233], v[196:197], v[142:143]
	s_waitcnt vmcnt(7) lgkmcnt(1)
	v_mul_f64 v[242:243], v[186:187], v[154:155]
	s_waitcnt vmcnt(6) lgkmcnt(0)
	v_mul_f64 v[246:247], v[182:183], v[150:151]
	v_mul_f64 v[248:249], v[180:181], v[150:151]
	;; [unrolled: 1-line block ×6, first 2 shown]
	v_fma_f64 v[200:201], v[200:201], v[144:145], -v[226:227]
	v_fmac_f64_e32 v[228:229], v[202:203], v[144:145]
	v_fma_f64 v[196:197], v[196:197], v[140:141], -v[230:231]
	v_fma_f64 v[184:185], v[184:185], v[152:153], -v[242:243]
	;; [unrolled: 1-line block ×3, first 2 shown]
	v_fmac_f64_e32 v[248:249], v[182:183], v[148:149]
	v_mul_f64 v[240:241], v[188:189], v[134:135]
	v_fmac_f64_e32 v[232:233], v[198:199], v[140:141]
	v_fma_f64 v[192:193], v[192:193], v[136:137], -v[234:235]
	v_fmac_f64_e32 v[236:237], v[194:195], v[136:137]
	v_fma_f64 v[188:189], v[188:189], v[132:133], -v[238:239]
	v_fmac_f64_e32 v[244:245], v[186:187], v[152:153]
	s_waitcnt vmcnt(4)
	v_mul_f64 v[194:195], v[168:169], v[82:83]
	v_add_f64 v[234:235], v[200:201], v[180:181]
	v_add_f64 v[252:253], v[228:229], v[248:249]
	v_add_f64 v[180:181], v[200:201], -v[180:181]
	v_add_f64 v[200:201], v[228:229], -v[248:249]
	v_add_f64 v[228:229], v[196:197], v[184:185]
	v_fmac_f64_e32 v[240:241], v[190:191], v[132:133]
	v_mul_f64 v[186:187], v[172:173], v[90:91]
	v_mul_f64 v[190:191], v[170:171], v[82:83]
	v_add_f64 v[248:249], v[232:233], v[244:245]
	v_add_f64 v[184:185], v[196:197], -v[184:185]
	v_add_f64 v[196:197], v[232:233], -v[244:245]
	v_add_f64 v[232:233], v[192:193], v[188:189]
	v_fmac_f64_e32 v[194:195], v[170:171], v[80:81]
	v_add_f64 v[170:171], v[228:229], v[234:235]
	v_mul_f64 v[182:183], v[174:175], v[90:91]
	s_waitcnt vmcnt(3)
	v_mul_f64 v[198:199], v[166:167], v[78:79]
	v_mul_f64 v[238:239], v[164:165], v[78:79]
	s_waitcnt vmcnt(1)
	v_mul_f64 v[246:247], v[204:205], v[118:119]
	s_waitcnt vmcnt(0)
	v_mul_f64 v[230:231], v[210:211], v[122:123]
	v_mul_f64 v[250:251], v[208:209], v[122:123]
	v_add_f64 v[244:245], v[236:237], v[240:241]
	v_add_f64 v[188:189], v[188:189], -v[192:193]
	v_add_f64 v[192:193], v[240:241], -v[236:237]
	v_fmac_f64_e32 v[186:187], v[174:175], v[88:89]
	v_add_f64 v[174:175], v[248:249], v[252:253]
	v_add_f64 v[170:171], v[232:233], v[170:171]
	v_mul_f64 v[202:203], v[158:159], v[70:71]
	v_mul_f64 v[242:243], v[156:157], v[70:71]
	;; [unrolled: 1-line block ×3, first 2 shown]
	v_fma_f64 v[172:173], v[172:173], v[88:89], -v[182:183]
	v_fma_f64 v[164:165], v[164:165], v[76:77], -v[198:199]
	v_fmac_f64_e32 v[238:239], v[166:167], v[76:77]
	v_fmac_f64_e32 v[246:247], v[206:207], v[116:117]
	v_fma_f64 v[166:167], v[208:209], v[120:121], -v[230:231]
	v_fmac_f64_e32 v[250:251], v[210:211], v[120:121]
	v_add_f64 v[182:183], v[228:229], -v[234:235]
	v_add_f64 v[206:207], v[232:233], -v[228:229]
	v_add_f64 v[198:199], v[188:189], v[184:185]
	v_add_f64 v[210:211], v[192:193], v[196:197]
	v_add_f64 v[228:229], v[192:193], -v[196:197]
	v_add_f64 v[230:231], v[196:197], -v[200:201]
	v_add_f64 v[174:175], v[244:245], v[174:175]
	v_add_f64 v[196:197], v[176:177], v[170:171]
	v_fma_f64 v[156:157], v[156:157], v[68:69], -v[202:203]
	v_fmac_f64_e32 v[242:243], v[158:159], v[68:69]
	v_fma_f64 v[158:159], v[204:205], v[116:117], -v[226:227]
	v_add_f64 v[202:203], v[234:235], -v[232:233]
	v_add_f64 v[204:205], v[252:253], -v[244:245]
	;; [unrolled: 1-line block ×6, first 2 shown]
	v_add_f64 v[180:181], v[198:199], v[180:181]
	v_add_f64 v[198:199], v[178:179], v[174:175]
	v_mul_f64 v[234:235], v[228:229], s[16:17]
	v_mov_b64_e32 v[228:229], v[196:197]
	v_fma_f64 v[168:169], v[168:169], v[80:81], -v[190:191]
	v_add_f64 v[190:191], v[248:249], -v[252:253]
	v_add_f64 v[192:193], v[200:201], -v[192:193]
	v_add_f64 v[200:201], v[210:211], v[200:201]
	v_mul_f64 v[176:177], v[202:203], s[10:11]
	v_mul_f64 v[178:179], v[204:205], s[10:11]
	;; [unrolled: 1-line block ×6, first 2 shown]
	v_fmac_f64_e32 v[228:229], s[18:19], v[170:171]
	v_mov_b64_e32 v[170:171], v[198:199]
	v_mul_f64 v[226:227], v[230:231], s[14:15]
	v_fmac_f64_e32 v[170:171], s[18:19], v[174:175]
	v_fma_f64 v[174:175], v[182:183], s[20:21], -v[202:203]
	v_fma_f64 v[202:203], v[190:191], s[20:21], -v[204:205]
	;; [unrolled: 1-line block ×3, first 2 shown]
	v_fmac_f64_e32 v[176:177], s[2:3], v[206:207]
	v_fma_f64 v[190:191], v[190:191], s[22:23], -v[178:179]
	v_fmac_f64_e32 v[178:179], s[2:3], v[208:209]
	v_fma_f64 v[184:185], v[184:185], s[14:15], -v[236:237]
	;; [unrolled: 2-line block ×4, first 2 shown]
	v_fma_f64 v[192:193], v[192:193], s[28:29], -v[226:227]
	v_add_f64 v[176:177], v[176:177], v[228:229]
	v_add_f64 v[178:179], v[178:179], v[170:171]
	;; [unrolled: 1-line block ×5, first 2 shown]
	v_fmac_f64_e32 v[236:237], s[26:27], v[180:181]
	v_fmac_f64_e32 v[234:235], s[26:27], v[200:201]
	;; [unrolled: 1-line block ×5, first 2 shown]
	v_add_f64 v[182:183], v[182:183], v[228:229]
	v_fmac_f64_e32 v[192:193], s[26:27], v[200:201]
	v_add_f64 v[200:201], v[234:235], v[176:177]
	v_add_f64 v[202:203], v[178:179], -v[236:237]
	v_add_f64 v[206:207], v[170:171], -v[188:189]
	;; [unrolled: 1-line block ×3, first 2 shown]
	v_add_f64 v[210:211], v[184:185], v[232:233]
	v_add_f64 v[226:227], v[230:231], v[174:175]
	v_add_f64 v[228:229], v[232:233], -v[184:185]
	v_add_f64 v[232:233], v[188:189], v[170:171]
	v_add_f64 v[234:235], v[176:177], -v[234:235]
	v_add_f64 v[236:237], v[236:237], v[178:179]
	v_add_f64 v[170:171], v[172:173], v[166:167]
	;; [unrolled: 1-line block ×6, first 2 shown]
	v_add_f64 v[230:231], v[182:183], -v[192:193]
	v_add_f64 v[166:167], v[172:173], -v[166:167]
	;; [unrolled: 1-line block ×5, first 2 shown]
	v_add_f64 v[180:181], v[164:165], v[156:157]
	v_add_f64 v[182:183], v[238:239], v[242:243]
	v_add_f64 v[156:157], v[156:157], -v[164:165]
	v_add_f64 v[164:165], v[242:243], -v[238:239]
	v_add_f64 v[184:185], v[176:177], v[170:171]
	v_add_f64 v[186:187], v[178:179], v[174:175]
	v_add_f64 v[188:189], v[176:177], -v[170:171]
	v_add_f64 v[190:191], v[178:179], -v[174:175]
	;; [unrolled: 1-line block ×6, first 2 shown]
	v_add_f64 v[170:171], v[156:157], v[158:159]
	v_add_f64 v[194:195], v[164:165], v[168:169]
	v_add_f64 v[238:239], v[156:157], -v[158:159]
	v_add_f64 v[240:241], v[164:165], -v[168:169]
	;; [unrolled: 1-line block ×4, first 2 shown]
	v_add_f64 v[180:181], v[180:181], v[184:185]
	v_add_f64 v[182:183], v[182:183], v[186:187]
	v_add_f64 v[156:157], v[166:167], -v[156:157]
	v_add_f64 v[164:165], v[172:173], -v[164:165]
	v_add_f64 v[166:167], v[170:171], v[166:167]
	v_add_f64 v[244:245], v[194:195], v[172:173]
	;; [unrolled: 1-line block ×4, first 2 shown]
	v_mul_f64 v[160:161], v[192:193], s[10:11]
	v_mul_f64 v[162:163], v[174:175], s[10:11]
	;; [unrolled: 1-line block ×8, first 2 shown]
	v_fma_f64 v[238:239], s[18:19], v[180:181], v[168:169]
	v_fma_f64 v[240:241], s[18:19], v[182:183], v[170:171]
	;; [unrolled: 1-line block ×3, first 2 shown]
	v_fma_f64 v[246:247], v[188:189], s[20:21], -v[174:175]
	v_fma_f64 v[248:249], v[190:191], s[20:21], -v[184:185]
	;; [unrolled: 1-line block ×4, first 2 shown]
	v_fmac_f64_e32 v[162:163], s[2:3], v[178:179]
	v_fma_f64 v[174:175], s[24:25], v[156:157], v[186:187]
	v_fma_f64 v[186:187], v[158:159], s[14:15], -v[186:187]
	v_fma_f64 v[182:183], v[242:243], s[14:15], -v[172:173]
	v_fmac_f64_e32 v[172:173], s[24:25], v[164:165]
	v_fma_f64 v[184:185], v[156:157], s[28:29], -v[192:193]
	v_fma_f64 v[180:181], v[164:165], s[28:29], -v[194:195]
	v_add_f64 v[176:177], v[176:177], v[238:239]
	v_add_f64 v[178:179], v[162:163], v[240:241]
	;; [unrolled: 1-line block ×6, first 2 shown]
	v_fmac_f64_e32 v[174:175], s[26:27], v[166:167]
	v_fmac_f64_e32 v[172:173], s[26:27], v[244:245]
	;; [unrolled: 1-line block ×6, first 2 shown]
	v_add_f64 v[164:165], v[182:183], v[190:191]
	v_add_f64 v[166:167], v[194:195], -v[186:187]
	v_add_f64 v[156:157], v[188:189], -v[180:181]
	v_add_f64 v[158:159], v[184:185], v[192:193]
	v_add_f64 v[160:161], v[176:177], -v[172:173]
	v_add_f64 v[162:163], v[174:175], v[178:179]
	ds_write_b128 v212, v[196:199]
	ds_write_b128 v212, v[200:203] offset:3872
	ds_write_b128 v212, v[204:207] offset:7744
	;; [unrolled: 1-line block ×6, first 2 shown]
	s_and_saveexec_b64 s[2:3], s[0:1]
	s_cbranch_execz .LBB0_9
; %bb.8:
	v_add_f64 v[196:197], v[186:187], v[194:195]
	v_add_f64 v[194:195], v[190:191], -v[182:183]
	v_add_f64 v[182:183], v[192:193], -v[184:185]
	v_add_f64 v[180:181], v[180:181], v[188:189]
	v_add_f64 v[174:175], v[178:179], -v[174:175]
	v_add_f64 v[172:173], v[172:173], v[176:177]
	ds_write_b128 v212, v[168:171] offset:2464
	ds_write_b128 v212, v[172:175] offset:6336
	;; [unrolled: 1-line block ×7, first 2 shown]
.LBB0_9:
	s_or_b64 exec, exec, s[2:3]
	v_mov_b32_e32 v213, 0
	v_lshl_add_u64 v[168:169], s[8:9], 0, v[212:213]
	s_mov_b64 s[2:3], 0x69e0
	v_lshl_add_u64 v[182:183], v[168:169], 0, s[2:3]
	s_movk_i32 s2, 0x6000
	v_add_co_u32_e64 v174, s[2:3], s2, v168
	s_waitcnt lgkmcnt(0)
	s_nop 0
	v_addc_co_u32_e64 v175, s[2:3], 0, v169, s[2:3]
	s_barrier
	global_load_dwordx4 v[174:177], v[174:175], off offset:2528
	ds_read_b128 v[170:173], v212
	s_movk_i32 s2, 0x7000
	s_mov_b32 s18, 0xf8bb580b
	s_mov_b32 s20, 0x8764f0ba
	;; [unrolled: 1-line block ×27, first 2 shown]
	s_waitcnt vmcnt(0) lgkmcnt(0)
	v_mul_f64 v[178:179], v[172:173], v[176:177]
	v_mul_f64 v[180:181], v[170:171], v[176:177]
	v_fma_f64 v[178:179], v[170:171], v[174:175], -v[178:179]
	v_fmac_f64_e32 v[180:181], v[172:173], v[174:175]
	global_load_dwordx4 v[174:177], v[182:183], off offset:2464
	ds_read_b128 v[170:173], v212 offset:2464
	ds_write_b128 v212, v[178:181]
	s_waitcnt vmcnt(0) lgkmcnt(1)
	v_mul_f64 v[178:179], v[172:173], v[176:177]
	v_mul_f64 v[180:181], v[170:171], v[176:177]
	v_fma_f64 v[178:179], v[170:171], v[174:175], -v[178:179]
	v_fmac_f64_e32 v[180:181], v[172:173], v[174:175]
	v_add_co_u32_e64 v174, s[2:3], s2, v168
	ds_read_b128 v[170:173], v212 offset:4928
	s_nop 0
	v_addc_co_u32_e64 v175, s[2:3], 0, v169, s[2:3]
	global_load_dwordx4 v[174:177], v[174:175], off offset:3360
	ds_write_b128 v212, v[178:181] offset:2464
	s_mov_b32 s2, 0x8000
	s_waitcnt vmcnt(0) lgkmcnt(1)
	v_mul_f64 v[178:179], v[172:173], v[176:177]
	v_mul_f64 v[180:181], v[170:171], v[176:177]
	v_fma_f64 v[178:179], v[170:171], v[174:175], -v[178:179]
	v_fmac_f64_e32 v[180:181], v[172:173], v[174:175]
	v_add_co_u32_e64 v174, s[2:3], s2, v168
	ds_read_b128 v[170:173], v212 offset:7392
	s_nop 0
	v_addc_co_u32_e64 v175, s[2:3], 0, v169, s[2:3]
	global_load_dwordx4 v[174:177], v[174:175], off offset:1728
	s_mov_b32 s2, 0x9000
	v_add_co_u32_e64 v182, s[2:3], s2, v168
	ds_write_b128 v212, v[178:181] offset:4928
	s_nop 0
	v_addc_co_u32_e64 v183, s[2:3], 0, v169, s[2:3]
	s_mov_b32 s2, 0xa000
	s_waitcnt vmcnt(0) lgkmcnt(1)
	v_mul_f64 v[178:179], v[172:173], v[176:177]
	v_mul_f64 v[180:181], v[170:171], v[176:177]
	v_fma_f64 v[178:179], v[170:171], v[174:175], -v[178:179]
	v_fmac_f64_e32 v[180:181], v[172:173], v[174:175]
	global_load_dwordx4 v[174:177], v[182:183], off offset:96
	ds_read_b128 v[170:173], v212 offset:9856
	ds_write_b128 v212, v[178:181] offset:7392
	s_waitcnt vmcnt(0) lgkmcnt(1)
	v_mul_f64 v[178:179], v[172:173], v[176:177]
	v_mul_f64 v[180:181], v[170:171], v[176:177]
	v_fma_f64 v[178:179], v[170:171], v[174:175], -v[178:179]
	v_fmac_f64_e32 v[180:181], v[172:173], v[174:175]
	global_load_dwordx4 v[174:177], v[182:183], off offset:2560
	ds_read_b128 v[170:173], v212 offset:12320
	v_add_co_u32_e64 v182, s[2:3], s2, v168
	ds_write_b128 v212, v[178:181] offset:9856
	s_nop 0
	v_addc_co_u32_e64 v183, s[2:3], 0, v169, s[2:3]
	s_mov_b32 s2, 0xb000
	s_waitcnt vmcnt(0) lgkmcnt(1)
	v_mul_f64 v[178:179], v[172:173], v[176:177]
	v_mul_f64 v[180:181], v[170:171], v[176:177]
	v_fma_f64 v[178:179], v[170:171], v[174:175], -v[178:179]
	v_fmac_f64_e32 v[180:181], v[172:173], v[174:175]
	global_load_dwordx4 v[174:177], v[182:183], off offset:928
	ds_read_b128 v[170:173], v212 offset:14784
	ds_write_b128 v212, v[178:181] offset:12320
	s_waitcnt vmcnt(0) lgkmcnt(1)
	v_mul_f64 v[178:179], v[172:173], v[176:177]
	v_mul_f64 v[180:181], v[170:171], v[176:177]
	v_fma_f64 v[178:179], v[170:171], v[174:175], -v[178:179]
	v_fmac_f64_e32 v[180:181], v[172:173], v[174:175]
	global_load_dwordx4 v[174:177], v[182:183], off offset:3392
	ds_read_b128 v[170:173], v212 offset:17248
	ds_write_b128 v212, v[178:181] offset:14784
	s_waitcnt vmcnt(0) lgkmcnt(1)
	v_mul_f64 v[178:179], v[172:173], v[176:177]
	v_mul_f64 v[180:181], v[170:171], v[176:177]
	v_fma_f64 v[178:179], v[170:171], v[174:175], -v[178:179]
	v_fmac_f64_e32 v[180:181], v[172:173], v[174:175]
	v_add_co_u32_e64 v174, s[2:3], s2, v168
	ds_read_b128 v[170:173], v212 offset:19712
	s_nop 0
	v_addc_co_u32_e64 v175, s[2:3], 0, v169, s[2:3]
	global_load_dwordx4 v[174:177], v[174:175], off offset:1760
	ds_write_b128 v212, v[178:181] offset:17248
	s_mov_b32 s2, 0xc000
	s_waitcnt vmcnt(0) lgkmcnt(1)
	v_mul_f64 v[178:179], v[172:173], v[176:177]
	v_mul_f64 v[180:181], v[170:171], v[176:177]
	v_fma_f64 v[178:179], v[170:171], v[174:175], -v[178:179]
	v_fmac_f64_e32 v[180:181], v[172:173], v[174:175]
	ds_write_b128 v212, v[178:181] offset:19712
	v_add_co_u32_e64 v178, s[2:3], s2, v168
	ds_read_b128 v[170:173], v212 offset:22176
	s_nop 0
	v_addc_co_u32_e64 v179, s[2:3], 0, v169, s[2:3]
	global_load_dwordx4 v[174:177], v[178:179], off offset:128
	s_mov_b32 s2, 0x43842ef
	s_mov_b32 s3, 0xbfefac9e
	;; [unrolled: 1-line block ×3, first 2 shown]
	s_waitcnt vmcnt(0) lgkmcnt(0)
	v_mul_f64 v[168:169], v[172:173], v[176:177]
	v_fma_f64 v[168:169], v[170:171], v[174:175], -v[168:169]
	v_mul_f64 v[170:171], v[170:171], v[176:177]
	v_fmac_f64_e32 v[170:171], v[172:173], v[174:175]
	global_load_dwordx4 v[172:175], v[178:179], off offset:2592
	ds_write_b128 v212, v[168:171] offset:22176
	ds_read_b128 v[168:171], v212 offset:24640
	s_waitcnt vmcnt(0) lgkmcnt(0)
	v_mul_f64 v[176:177], v[170:171], v[174:175]
	v_mul_f64 v[178:179], v[168:169], v[174:175]
	v_fma_f64 v[176:177], v[168:169], v[172:173], -v[176:177]
	v_fmac_f64_e32 v[178:179], v[170:171], v[172:173]
	ds_write_b128 v212, v[176:179] offset:24640
	s_waitcnt lgkmcnt(0)
	s_barrier
	ds_read_b128 v[192:195], v212
	ds_read_b128 v[196:199], v212 offset:2464
	ds_read_b128 v[200:203], v212 offset:4928
	;; [unrolled: 1-line block ×10, first 2 shown]
	s_waitcnt lgkmcnt(9)
	v_add_f64 v[172:173], v[192:193], v[196:197]
	v_add_f64 v[174:175], v[194:195], v[198:199]
	s_waitcnt lgkmcnt(8)
	v_add_f64 v[172:173], v[172:173], v[200:201]
	v_add_f64 v[174:175], v[174:175], v[202:203]
	;; [unrolled: 3-line block ×8, first 2 shown]
	s_waitcnt lgkmcnt(1)
	v_add_f64 v[172:173], v[172:173], v[208:209]
	s_waitcnt lgkmcnt(0)
	v_add_f64 v[232:233], v[198:199], v[228:229]
	v_add_f64 v[198:199], v[198:199], -v[228:229]
	v_add_f64 v[174:175], v[174:175], v[210:211]
	v_add_f64 v[172:173], v[172:173], v[226:227]
	;; [unrolled: 1-line block ×3, first 2 shown]
	v_add_f64 v[196:197], v[196:197], -v[226:227]
	v_mul_f64 v[226:227], v[198:199], s[18:19]
	v_mul_f64 v[234:235], v[232:233], s[20:21]
	;; [unrolled: 1-line block ×10, first 2 shown]
	v_add_f64 v[174:175], v[174:175], v[228:229]
	v_fma_f64 v[228:229], s[20:21], v[230:231], v[226:227]
	v_fma_f64 v[236:237], s[22:23], v[196:197], v[234:235]
	v_fma_f64 v[226:227], v[230:231], s[20:21], -v[226:227]
	v_fmac_f64_e32 v[234:235], s[18:19], v[196:197]
	v_fma_f64 v[240:241], s[10:11], v[230:231], v[238:239]
	v_fma_f64 v[244:245], s[14:15], v[196:197], v[242:243]
	v_fma_f64 v[238:239], v[230:231], s[10:11], -v[238:239]
	v_fmac_f64_e32 v[242:243], s[8:9], v[196:197]
	;; [unrolled: 4-line block ×5, first 2 shown]
	v_add_f64 v[228:229], v[192:193], v[228:229]
	v_add_f64 v[236:237], v[194:195], v[236:237]
	;; [unrolled: 1-line block ×21, first 2 shown]
	v_add_f64 v[198:199], v[200:201], -v[208:209]
	v_add_f64 v[200:201], v[202:203], -v[210:211]
	v_add_f64 v[196:197], v[202:203], v[210:211]
	v_mul_f64 v[202:203], v[200:201], s[8:9]
	v_fma_f64 v[208:209], s[10:11], v[194:195], v[202:203]
	v_fma_f64 v[202:203], v[194:195], s[10:11], -v[202:203]
	v_add_f64 v[202:203], v[202:203], v[226:227]
	v_mul_f64 v[226:227], v[200:201], s[26:27]
	v_mul_f64 v[210:211], v[196:197], s[10:11]
	v_fma_f64 v[230:231], s[28:29], v[194:195], v[226:227]
	v_fma_f64 v[226:227], v[194:195], s[28:29], -v[226:227]
	v_add_f64 v[208:209], v[208:209], v[228:229]
	v_fma_f64 v[228:229], s[14:15], v[198:199], v[210:211]
	v_fmac_f64_e32 v[210:211], s[8:9], v[198:199]
	v_add_f64 v[226:227], v[226:227], v[238:239]
	v_mul_f64 v[238:239], v[200:201], s[38:39]
	v_add_f64 v[210:211], v[210:211], v[234:235]
	v_add_f64 v[230:231], v[230:231], v[240:241]
	v_mul_f64 v[234:235], v[196:197], s[28:29]
	v_fma_f64 v[240:241], s[36:37], v[194:195], v[238:239]
	v_fma_f64 v[238:239], v[194:195], s[36:37], -v[238:239]
	v_add_f64 v[228:229], v[228:229], v[236:237]
	v_fma_f64 v[236:237], s[30:31], v[198:199], v[234:235]
	v_fmac_f64_e32 v[234:235], s[26:27], v[198:199]
	v_add_f64 v[238:239], v[238:239], v[246:247]
	v_mul_f64 v[246:247], v[200:201], s[24:25]
	v_add_f64 v[234:235], v[234:235], v[242:243]
	v_add_f64 v[240:241], v[240:241], v[248:249]
	v_mul_f64 v[242:243], v[196:197], s[36:37]
	v_fma_f64 v[248:249], s[16:17], v[194:195], v[246:247]
	v_add_f64 v[236:237], v[236:237], v[244:245]
	v_fma_f64 v[244:245], s[34:35], v[198:199], v[242:243]
	v_fmac_f64_e32 v[242:243], s[38:39], v[198:199]
	v_add_f64 v[218:219], v[248:249], v[218:219]
	v_mul_f64 v[248:249], v[196:197], s[16:17]
	v_add_f64 v[242:243], v[242:243], v[250:251]
	v_fma_f64 v[250:251], s[2:3], v[198:199], v[248:249]
	v_fmac_f64_e32 v[248:249], s[24:25], v[198:199]
	v_mul_f64 v[200:201], v[200:201], s[22:23]
	v_add_f64 v[220:221], v[248:249], v[220:221]
	v_fma_f64 v[248:249], s[20:21], v[194:195], v[200:201]
	v_mul_f64 v[196:197], v[196:197], s[20:21]
	v_add_f64 v[0:1], v[248:249], v[0:1]
	v_fma_f64 v[248:249], s[18:19], v[198:199], v[196:197]
	v_fmac_f64_e32 v[196:197], s[22:23], v[198:199]
	v_fma_f64 v[246:247], v[194:195], s[16:17], -v[246:247]
	v_fma_f64 v[194:195], v[194:195], s[20:21], -v[200:201]
	v_add_f64 v[2:3], v[196:197], v[2:3]
	v_add_f64 v[196:197], v[190:191], v[206:207]
	v_add_f64 v[190:191], v[190:191], -v[206:207]
	v_add_f64 v[192:193], v[194:195], v[192:193]
	v_add_f64 v[194:195], v[188:189], v[204:205]
	v_add_f64 v[188:189], v[188:189], -v[204:205]
	v_mul_f64 v[198:199], v[190:191], s[2:3]
	v_mul_f64 v[204:205], v[196:197], s[16:17]
	v_fma_f64 v[200:201], s[16:17], v[194:195], v[198:199]
	v_fma_f64 v[206:207], s[24:25], v[188:189], v[204:205]
	v_fma_f64 v[198:199], v[194:195], s[16:17], -v[198:199]
	v_fmac_f64_e32 v[204:205], s[2:3], v[188:189]
	v_add_f64 v[198:199], v[198:199], v[202:203]
	v_add_f64 v[202:203], v[204:205], v[210:211]
	v_mul_f64 v[204:205], v[190:191], s[38:39]
	v_add_f64 v[200:201], v[200:201], v[208:209]
	v_fma_f64 v[208:209], s[36:37], v[194:195], v[204:205]
	v_fma_f64 v[204:205], v[194:195], s[36:37], -v[204:205]
	v_add_f64 v[204:205], v[204:205], v[226:227]
	v_mul_f64 v[226:227], v[190:191], s[14:15]
	v_add_f64 v[208:209], v[208:209], v[230:231]
	v_mul_f64 v[210:211], v[196:197], s[36:37]
	v_fma_f64 v[230:231], s[10:11], v[194:195], v[226:227]
	v_fma_f64 v[226:227], v[194:195], s[10:11], -v[226:227]
	v_add_f64 v[206:207], v[206:207], v[228:229]
	v_fma_f64 v[228:229], s[34:35], v[188:189], v[210:211]
	v_fmac_f64_e32 v[210:211], s[38:39], v[188:189]
	v_add_f64 v[226:227], v[226:227], v[238:239]
	v_mul_f64 v[238:239], v[190:191], s[18:19]
	v_add_f64 v[210:211], v[210:211], v[234:235]
	v_add_f64 v[230:231], v[230:231], v[240:241]
	v_mul_f64 v[234:235], v[196:197], s[10:11]
	v_fma_f64 v[240:241], s[20:21], v[194:195], v[238:239]
	v_add_f64 v[228:229], v[228:229], v[236:237]
	v_fma_f64 v[236:237], s[8:9], v[188:189], v[234:235]
	v_fmac_f64_e32 v[234:235], s[14:15], v[188:189]
	v_add_f64 v[218:219], v[240:241], v[218:219]
	v_mul_f64 v[240:241], v[196:197], s[20:21]
	v_add_f64 v[234:235], v[234:235], v[242:243]
	v_fma_f64 v[242:243], s[22:23], v[188:189], v[240:241]
	v_fmac_f64_e32 v[240:241], s[18:19], v[188:189]
	v_mul_f64 v[190:191], v[190:191], s[26:27]
	v_add_f64 v[220:221], v[240:241], v[220:221]
	v_fma_f64 v[240:241], s[28:29], v[194:195], v[190:191]
	v_fma_f64 v[190:191], v[194:195], s[28:29], -v[190:191]
	v_mul_f64 v[196:197], v[196:197], s[28:29]
	v_add_f64 v[190:191], v[190:191], v[192:193]
	v_add_f64 v[192:193], v[182:183], v[186:187]
	v_add_f64 v[182:183], v[182:183], -v[186:187]
	v_add_f64 v[0:1], v[240:241], v[0:1]
	v_fma_f64 v[240:241], s[30:31], v[188:189], v[196:197]
	v_fmac_f64_e32 v[196:197], s[26:27], v[188:189]
	v_add_f64 v[188:189], v[180:181], v[184:185]
	v_add_f64 v[180:181], v[180:181], -v[184:185]
	v_mul_f64 v[184:185], v[182:183], s[26:27]
	v_fma_f64 v[186:187], s[28:29], v[188:189], v[184:185]
	v_fma_f64 v[184:185], v[188:189], s[28:29], -v[184:185]
	v_add_f64 v[184:185], v[184:185], v[198:199]
	v_mul_f64 v[198:199], v[182:183], s[24:25]
	v_fma_f64 v[238:239], v[194:195], s[20:21], -v[238:239]
	v_add_f64 v[186:187], v[186:187], v[200:201]
	v_mul_f64 v[194:195], v[192:193], s[28:29]
	v_fma_f64 v[200:201], s[16:17], v[188:189], v[198:199]
	v_fma_f64 v[198:199], v[188:189], s[16:17], -v[198:199]
	v_add_f64 v[2:3], v[196:197], v[2:3]
	v_fma_f64 v[196:197], s[30:31], v[180:181], v[194:195]
	v_fmac_f64_e32 v[194:195], s[26:27], v[180:181]
	v_add_f64 v[198:199], v[198:199], v[204:205]
	v_mul_f64 v[204:205], v[182:183], s[18:19]
	v_add_f64 v[194:195], v[194:195], v[202:203]
	v_add_f64 v[200:201], v[200:201], v[208:209]
	v_mul_f64 v[202:203], v[192:193], s[16:17]
	v_fma_f64 v[208:209], s[20:21], v[188:189], v[204:205]
	v_fma_f64 v[204:205], v[188:189], s[20:21], -v[204:205]
	v_add_f64 v[196:197], v[196:197], v[206:207]
	v_fma_f64 v[206:207], s[2:3], v[180:181], v[202:203]
	v_fmac_f64_e32 v[202:203], s[24:25], v[180:181]
	v_add_f64 v[204:205], v[204:205], v[226:227]
	v_mul_f64 v[226:227], v[182:183], s[34:35]
	v_add_f64 v[202:203], v[202:203], v[210:211]
	v_add_f64 v[208:209], v[208:209], v[230:231]
	v_mul_f64 v[210:211], v[192:193], s[20:21]
	v_fma_f64 v[230:231], s[36:37], v[188:189], v[226:227]
	v_add_f64 v[206:207], v[206:207], v[228:229]
	v_fma_f64 v[228:229], s[22:23], v[180:181], v[210:211]
	v_fmac_f64_e32 v[210:211], s[18:19], v[180:181]
	v_add_f64 v[218:219], v[230:231], v[218:219]
	v_mul_f64 v[230:231], v[192:193], s[36:37]
	v_add_f64 v[210:211], v[210:211], v[234:235]
	v_fma_f64 v[234:235], s[38:39], v[180:181], v[230:231]
	v_fmac_f64_e32 v[230:231], s[34:35], v[180:181]
	v_mul_f64 v[182:183], v[182:183], s[14:15]
	v_add_f64 v[222:223], v[250:251], v[222:223]
	v_add_f64 v[246:247], v[246:247], v[254:255]
	;; [unrolled: 1-line block ×4, first 2 shown]
	v_fma_f64 v[230:231], s[10:11], v[188:189], v[182:183]
	v_mul_f64 v[192:193], v[192:193], s[10:11]
	v_add_f64 v[244:245], v[244:245], v[252:253]
	v_add_f64 v[222:223], v[242:243], v[222:223]
	;; [unrolled: 1-line block ×4, first 2 shown]
	v_fma_f64 v[226:227], v[188:189], s[36:37], -v[226:227]
	v_add_f64 v[0:1], v[230:231], v[0:1]
	v_fma_f64 v[230:231], s[8:9], v[180:181], v[192:193]
	v_fmac_f64_e32 v[192:193], s[14:15], v[180:181]
	v_add_f64 v[240:241], v[170:171], -v[178:179]
	v_add_f64 v[236:237], v[236:237], v[244:245]
	v_add_f64 v[222:223], v[234:235], v[222:223]
	;; [unrolled: 1-line block ×5, first 2 shown]
	v_add_f64 v[238:239], v[168:169], -v[176:177]
	v_mul_f64 v[168:169], v[240:241], s[34:35]
	v_mul_f64 v[192:193], v[240:241], s[26:27]
	v_add_f64 v[228:229], v[228:229], v[236:237]
	v_fma_f64 v[182:183], v[188:189], s[10:11], -v[182:183]
	v_add_f64 v[236:237], v[170:171], v[178:179]
	v_fma_f64 v[170:171], s[36:37], v[234:235], v[168:169]
	v_fma_f64 v[168:169], v[234:235], s[36:37], -v[168:169]
	v_fma_f64 v[188:189], s[28:29], v[234:235], v[192:193]
	v_add_f64 v[176:177], v[170:171], v[186:187]
	v_mul_f64 v[170:171], v[236:237], s[36:37]
	v_add_f64 v[168:169], v[168:169], v[184:185]
	v_mul_f64 v[184:185], v[240:241], s[22:23]
	v_mul_f64 v[186:187], v[236:237], s[20:21]
	v_add_f64 v[188:189], v[188:189], v[208:209]
	v_fma_f64 v[192:193], v[234:235], s[28:29], -v[192:193]
	v_mul_f64 v[208:209], v[240:241], s[2:3]
	v_add_f64 v[230:231], v[230:231], v[232:233]
	v_add_f64 v[232:233], v[182:183], v[190:191]
	v_fma_f64 v[178:179], s[38:39], v[238:239], v[170:171]
	v_fmac_f64_e32 v[170:171], s[34:35], v[238:239]
	v_fma_f64 v[180:181], s[20:21], v[234:235], v[184:185]
	v_fma_f64 v[182:183], s[18:19], v[238:239], v[186:187]
	v_fmac_f64_e32 v[186:187], s[22:23], v[238:239]
	v_add_f64 v[192:193], v[192:193], v[204:205]
	v_fma_f64 v[204:205], s[16:17], v[234:235], v[208:209]
	v_add_f64 v[170:171], v[170:171], v[194:195]
	v_add_f64 v[180:181], v[180:181], v[200:201]
	v_fma_f64 v[184:185], v[234:235], s[20:21], -v[184:185]
	v_add_f64 v[186:187], v[186:187], v[202:203]
	v_mul_f64 v[194:195], v[236:237], s[28:29]
	v_mul_f64 v[200:201], v[240:241], s[14:15]
	;; [unrolled: 1-line block ×3, first 2 shown]
	v_add_f64 v[204:205], v[204:205], v[0:1]
	v_mul_f64 v[0:1], v[236:237], s[16:17]
	v_add_f64 v[178:179], v[178:179], v[196:197]
	v_add_f64 v[182:183], v[182:183], v[206:207]
	;; [unrolled: 1-line block ×3, first 2 shown]
	v_fma_f64 v[190:191], s[30:31], v[238:239], v[194:195]
	v_fmac_f64_e32 v[194:195], s[26:27], v[238:239]
	v_fma_f64 v[196:197], s[10:11], v[234:235], v[200:201]
	v_fma_f64 v[198:199], s[8:9], v[238:239], v[202:203]
	v_fma_f64 v[200:201], v[234:235], s[10:11], -v[200:201]
	v_fmac_f64_e32 v[202:203], s[14:15], v[238:239]
	v_fma_f64 v[206:207], s[24:25], v[238:239], v[0:1]
	v_fma_f64 v[208:209], v[234:235], s[16:17], -v[208:209]
	v_fmac_f64_e32 v[0:1], s[2:3], v[238:239]
	v_add_f64 v[190:191], v[190:191], v[228:229]
	v_add_f64 v[194:195], v[194:195], v[210:211]
	;; [unrolled: 1-line block ×9, first 2 shown]
	s_barrier
	ds_write_b128 v217, v[172:175]
	ds_write_b128 v217, v[176:179] offset:16
	ds_write_b128 v217, v[180:183] offset:32
	;; [unrolled: 1-line block ×10, first 2 shown]
	s_waitcnt lgkmcnt(0)
	s_barrier
	ds_read_b128 v[188:191], v212
	ds_read_b128 v[204:207], v212 offset:13552
	ds_read_b128 v[184:187], v212 offset:2464
	;; [unrolled: 1-line block ×9, first 2 shown]
	s_and_saveexec_b64 s[2:3], vcc
	s_cbranch_execz .LBB0_11
; %bb.10:
	ds_read_b128 v[168:171], v212 offset:12320
	ds_read_b128 v[164:167], v212 offset:25872
.LBB0_11:
	s_or_b64 exec, exec, s[2:3]
	s_waitcnt lgkmcnt(8)
	v_mul_f64 v[0:1], v[66:67], v[206:207]
	v_mul_f64 v[2:3], v[66:67], v[204:205]
	s_waitcnt lgkmcnt(4)
	v_mul_f64 v[66:67], v[50:51], v[198:199]
	v_mul_f64 v[50:51], v[50:51], v[196:197]
	v_fmac_f64_e32 v[66:67], v[48:49], v[196:197]
	v_fma_f64 v[196:197], v[48:49], v[198:199], -v[50:51]
	s_waitcnt lgkmcnt(2)
	v_mul_f64 v[198:199], v[46:47], v[194:195]
	s_waitcnt lgkmcnt(0)
	v_mul_f64 v[48:49], v[58:59], v[208:209]
	v_fmac_f64_e32 v[0:1], v[64:65], v[204:205]
	v_fma_f64 v[2:3], v[64:65], v[206:207], -v[2:3]
	v_mul_f64 v[64:65], v[62:63], v[202:203]
	v_mul_f64 v[62:63], v[62:63], v[200:201]
	v_fmac_f64_e32 v[198:199], v[44:45], v[192:193]
	v_mul_f64 v[46:47], v[46:47], v[192:193]
	v_fma_f64 v[192:193], v[56:57], v[210:211], -v[48:49]
	v_mul_f64 v[48:49], v[54:55], v[164:165]
	v_fmac_f64_e32 v[64:65], v[60:61], v[200:201]
	v_fma_f64 v[60:61], v[60:61], v[202:203], -v[62:63]
	v_fma_f64 v[44:45], v[44:45], v[194:195], -v[46:47]
	v_mul_f64 v[46:47], v[58:59], v[210:211]
	v_mul_f64 v[194:195], v[54:55], v[166:167]
	v_fma_f64 v[200:201], v[52:53], v[166:167], -v[48:49]
	v_add_f64 v[48:49], v[188:189], -v[0:1]
	v_add_f64 v[50:51], v[190:191], -v[2:3]
	v_fmac_f64_e32 v[46:47], v[56:57], v[208:209]
	v_fmac_f64_e32 v[194:195], v[52:53], v[164:165]
	v_fma_f64 v[52:53], v[188:189], 2.0, -v[48:49]
	v_fma_f64 v[54:55], v[190:191], 2.0, -v[50:51]
	v_add_f64 v[56:57], v[184:185], -v[64:65]
	v_add_f64 v[58:59], v[186:187], -v[60:61]
	v_accvgpr_read_b32 v0, a6
	v_fma_f64 v[60:61], v[184:185], 2.0, -v[56:57]
	v_fma_f64 v[62:63], v[186:187], 2.0, -v[58:59]
	v_add_f64 v[64:65], v[180:181], -v[66:67]
	v_add_f64 v[66:67], v[182:183], -v[196:197]
	s_barrier
	ds_write_b128 v0, v[52:55]
	ds_write_b128 v0, v[48:51] offset:176
	v_accvgpr_read_b32 v0, a7
	v_fma_f64 v[164:165], v[180:181], 2.0, -v[64:65]
	v_fma_f64 v[166:167], v[182:183], 2.0, -v[66:67]
	v_add_f64 v[180:181], v[176:177], -v[198:199]
	v_add_f64 v[182:183], v[178:179], -v[44:45]
	v_add_f64 v[184:185], v[172:173], -v[46:47]
	v_add_f64 v[186:187], v[174:175], -v[192:193]
	v_add_f64 v[44:45], v[168:169], -v[194:195]
	v_add_f64 v[46:47], v[170:171], -v[200:201]
	ds_write_b128 v0, v[60:63]
	ds_write_b128 v0, v[56:59] offset:176
	v_accvgpr_read_b32 v0, a8
	v_fma_f64 v[176:177], v[176:177], 2.0, -v[180:181]
	v_fma_f64 v[178:179], v[178:179], 2.0, -v[182:183]
	;; [unrolled: 1-line block ×4, first 2 shown]
	ds_write_b128 v0, v[164:167]
	ds_write_b128 v0, v[64:67] offset:176
	ds_write_b128 v225, v[176:179]
	ds_write_b128 v225, v[180:183] offset:176
	;; [unrolled: 2-line block ×3, first 2 shown]
	s_and_saveexec_b64 s[2:3], vcc
	s_cbranch_execz .LBB0_13
; %bb.12:
	v_accvgpr_read_b32 v0, a4
	v_accvgpr_read_b32 v1, a5
	v_mad_legacy_u16 v0, v0, 22, v1
	v_fma_f64 v[50:51], v[170:171], 2.0, -v[46:47]
	v_fma_f64 v[48:49], v[168:169], 2.0, -v[44:45]
	v_lshlrev_b32_e32 v0, 4, v0
	ds_write_b128 v0, v[48:51]
	ds_write_b128 v0, v[44:47] offset:176
.LBB0_13:
	s_or_b64 exec, exec, s[2:3]
	s_waitcnt lgkmcnt(0)
	s_barrier
	ds_read_b128 v[48:51], v212
	ds_read_b128 v[52:55], v212 offset:2464
	ds_read_b128 v[56:59], v212 offset:4928
	;; [unrolled: 1-line block ×10, first 2 shown]
	s_waitcnt lgkmcnt(9)
	v_mul_f64 v[0:1], v[98:99], v[54:55]
	v_mul_f64 v[2:3], v[98:99], v[52:53]
	v_fmac_f64_e32 v[0:1], v[96:97], v[52:53]
	v_fma_f64 v[2:3], v[96:97], v[54:55], -v[2:3]
	s_waitcnt lgkmcnt(8)
	v_mul_f64 v[96:97], v[94:95], v[58:59]
	v_mul_f64 v[52:53], v[94:95], v[56:57]
	s_waitcnt lgkmcnt(7)
	v_mul_f64 v[94:95], v[86:87], v[62:63]
	v_fmac_f64_e32 v[96:97], v[92:93], v[56:57]
	v_fma_f64 v[92:93], v[92:93], v[58:59], -v[52:53]
	v_fmac_f64_e32 v[94:95], v[84:85], v[60:61]
	v_mul_f64 v[52:53], v[86:87], v[60:61]
	s_waitcnt lgkmcnt(6)
	v_mul_f64 v[60:61], v[74:75], v[66:67]
	v_fma_f64 v[84:85], v[84:85], v[62:63], -v[52:53]
	v_fmac_f64_e32 v[60:61], v[72:73], v[64:65]
	v_mul_f64 v[52:53], v[74:75], v[64:65]
	s_waitcnt lgkmcnt(3)
	v_mul_f64 v[64:65], v[106:107], v[172:173]
	v_fma_f64 v[74:75], v[104:105], v[174:175], -v[64:65]
	s_waitcnt lgkmcnt(2)
	v_mul_f64 v[64:65], v[102:103], v[176:177]
	v_fma_f64 v[98:99], v[100:101], v[178:179], -v[64:65]
	s_waitcnt lgkmcnt(1)
	v_mul_f64 v[64:65], v[130:131], v[180:181]
	v_mul_f64 v[86:87], v[102:103], v[178:179]
	v_fma_f64 v[102:103], v[128:129], v[182:183], -v[64:65]
	s_waitcnt lgkmcnt(0)
	v_mul_f64 v[64:65], v[126:127], v[184:185]
	v_fma_f64 v[62:63], v[72:73], v[66:67], -v[52:53]
	v_mul_f64 v[72:73], v[106:107], v[174:175]
	v_fma_f64 v[106:107], v[124:125], v[186:187], -v[64:65]
	v_add_f64 v[64:65], v[48:49], v[0:1]
	v_add_f64 v[66:67], v[50:51], v[2:3]
	;; [unrolled: 1-line block ×3, first 2 shown]
	v_mul_f64 v[52:53], v[114:115], v[166:167]
	v_add_f64 v[66:67], v[66:67], v[92:93]
	v_add_f64 v[64:65], v[64:65], v[94:95]
	v_fmac_f64_e32 v[52:53], v[112:113], v[164:165]
	v_mul_f64 v[54:55], v[114:115], v[164:165]
	v_mul_f64 v[56:57], v[110:111], v[170:171]
	v_add_f64 v[66:67], v[66:67], v[84:85]
	v_add_f64 v[64:65], v[64:65], v[60:61]
	v_fma_f64 v[54:55], v[112:113], v[166:167], -v[54:55]
	v_fmac_f64_e32 v[56:57], v[108:109], v[168:169]
	v_mul_f64 v[58:59], v[110:111], v[168:169]
	v_add_f64 v[66:67], v[66:67], v[62:63]
	v_add_f64 v[64:65], v[64:65], v[52:53]
	v_fma_f64 v[58:59], v[108:109], v[170:171], -v[58:59]
	v_fmac_f64_e32 v[72:73], v[104:105], v[172:173]
	v_add_f64 v[66:67], v[66:67], v[54:55]
	v_add_f64 v[64:65], v[64:65], v[56:57]
	v_fmac_f64_e32 v[86:87], v[100:101], v[176:177]
	v_mul_f64 v[100:101], v[130:131], v[182:183]
	v_mul_f64 v[104:105], v[126:127], v[186:187]
	v_add_f64 v[66:67], v[66:67], v[58:59]
	v_add_f64 v[64:65], v[64:65], v[72:73]
	v_fmac_f64_e32 v[100:101], v[128:129], v[180:181]
	v_fmac_f64_e32 v[104:105], v[124:125], v[184:185]
	v_add_f64 v[66:67], v[66:67], v[74:75]
	v_add_f64 v[64:65], v[64:65], v[86:87]
	;; [unrolled: 1-line block ×3, first 2 shown]
	s_mov_b32 s2, 0x43842ef
	v_add_f64 v[66:67], v[66:67], v[98:99]
	v_add_f64 v[64:65], v[64:65], v[100:101]
	;; [unrolled: 1-line block ×3, first 2 shown]
	v_add_f64 v[0:1], v[0:1], -v[104:105]
	v_add_f64 v[2:3], v[2:3], -v[106:107]
	v_mul_f64 v[112:113], v[110:111], s[20:21]
	s_mov_b32 s22, s18
	v_mul_f64 v[128:129], v[110:111], s[10:11]
	s_mov_b32 s14, s8
	s_mov_b32 s3, 0xbfefac9e
	v_mul_f64 v[168:169], v[110:111], s[16:17]
	s_mov_b32 s24, s2
	v_mul_f64 v[176:177], v[110:111], s[28:29]
	;; [unrolled: 2-line block ×3, first 2 shown]
	s_mov_b32 s38, s34
	v_add_f64 v[66:67], v[66:67], v[102:103]
	v_add_f64 v[64:65], v[64:65], v[104:105]
	v_mul_f64 v[104:105], v[2:3], s[18:19]
	v_fma_f64 v[114:115], s[22:23], v[0:1], v[112:113]
	v_fmac_f64_e32 v[112:113], s[18:19], v[0:1]
	v_mul_f64 v[124:125], v[2:3], s[8:9]
	v_fma_f64 v[130:131], s[14:15], v[0:1], v[128:129]
	v_fmac_f64_e32 v[128:129], s[8:9], v[0:1]
	;; [unrolled: 3-line block ×5, first 2 shown]
	v_add_f64 v[66:67], v[66:67], v[106:107]
	v_fma_f64 v[106:107], s[20:21], v[108:109], v[104:105]
	v_add_f64 v[114:115], v[50:51], v[114:115]
	v_fma_f64 v[104:105], v[108:109], s[20:21], -v[104:105]
	v_add_f64 v[112:113], v[50:51], v[112:113]
	v_fma_f64 v[126:127], s[10:11], v[108:109], v[124:125]
	v_add_f64 v[130:131], v[50:51], v[130:131]
	v_fma_f64 v[124:125], v[108:109], s[10:11], -v[124:125]
	;; [unrolled: 4-line block ×5, first 2 shown]
	v_add_f64 v[0:1], v[50:51], v[110:111]
	v_add_f64 v[50:51], v[92:93], v[102:103]
	v_add_f64 v[92:93], v[92:93], -v[102:103]
	v_add_f64 v[106:107], v[48:49], v[106:107]
	v_add_f64 v[104:105], v[48:49], v[104:105]
	;; [unrolled: 1-line block ×11, first 2 shown]
	v_add_f64 v[96:97], v[96:97], -v[100:101]
	v_mul_f64 v[100:101], v[92:93], s[8:9]
	v_fma_f64 v[102:103], s[10:11], v[48:49], v[100:101]
	v_add_f64 v[102:103], v[102:103], v[106:107]
	v_mul_f64 v[106:107], v[50:51], s[10:11]
	v_fma_f64 v[108:109], s[14:15], v[96:97], v[106:107]
	v_fma_f64 v[100:101], v[48:49], s[10:11], -v[100:101]
	v_fmac_f64_e32 v[106:107], s[8:9], v[96:97]
	v_add_f64 v[100:101], v[100:101], v[104:105]
	v_add_f64 v[104:105], v[106:107], v[112:113]
	v_mul_f64 v[106:107], v[92:93], s[26:27]
	v_fma_f64 v[110:111], s[28:29], v[48:49], v[106:107]
	v_mul_f64 v[112:113], v[50:51], s[28:29]
	v_fma_f64 v[106:107], v[48:49], s[28:29], -v[106:107]
	v_add_f64 v[108:109], v[108:109], v[114:115]
	v_fma_f64 v[114:115], s[30:31], v[96:97], v[112:113]
	v_add_f64 v[106:107], v[106:107], v[124:125]
	v_fmac_f64_e32 v[112:113], s[26:27], v[96:97]
	v_mul_f64 v[124:125], v[92:93], s[38:39]
	v_add_f64 v[110:111], v[110:111], v[126:127]
	v_add_f64 v[112:113], v[112:113], v[128:129]
	v_fma_f64 v[126:127], s[36:37], v[48:49], v[124:125]
	v_mul_f64 v[128:129], v[50:51], s[36:37]
	v_fma_f64 v[124:125], v[48:49], s[36:37], -v[124:125]
	v_add_f64 v[114:115], v[114:115], v[130:131]
	v_fma_f64 v[130:131], s[34:35], v[96:97], v[128:129]
	v_add_f64 v[124:125], v[124:125], v[164:165]
	v_fmac_f64_e32 v[128:129], s[38:39], v[96:97]
	v_mul_f64 v[164:165], v[92:93], s[24:25]
	v_add_f64 v[126:127], v[126:127], v[166:167]
	v_add_f64 v[128:129], v[128:129], v[168:169]
	v_fma_f64 v[166:167], s[16:17], v[48:49], v[164:165]
	v_mul_f64 v[168:169], v[50:51], s[16:17]
	v_mul_f64 v[50:51], v[50:51], s[20:21]
	v_add_f64 v[166:167], v[166:167], v[174:175]
	v_fma_f64 v[164:165], v[48:49], s[16:17], -v[164:165]
	v_mul_f64 v[92:93], v[92:93], s[22:23]
	v_fma_f64 v[174:175], s[18:19], v[96:97], v[50:51]
	v_fmac_f64_e32 v[50:51], s[22:23], v[96:97]
	v_add_f64 v[164:165], v[164:165], v[172:173]
	v_fma_f64 v[172:173], s[20:21], v[48:49], v[92:93]
	v_fma_f64 v[48:49], v[48:49], s[20:21], -v[92:93]
	v_add_f64 v[0:1], v[50:51], v[0:1]
	v_add_f64 v[50:51], v[84:85], v[98:99]
	v_add_f64 v[84:85], v[84:85], -v[98:99]
	v_add_f64 v[2:3], v[48:49], v[2:3]
	v_add_f64 v[48:49], v[94:95], v[86:87]
	v_mul_f64 v[92:93], v[84:85], s[2:3]
	v_add_f64 v[130:131], v[130:131], v[170:171]
	v_fma_f64 v[170:171], s[2:3], v[96:97], v[168:169]
	v_fmac_f64_e32 v[168:169], s[24:25], v[96:97]
	v_add_f64 v[86:87], v[94:95], -v[86:87]
	v_fma_f64 v[94:95], s[16:17], v[48:49], v[92:93]
	v_mul_f64 v[96:97], v[50:51], s[16:17]
	v_fma_f64 v[92:93], v[48:49], s[16:17], -v[92:93]
	v_fma_f64 v[98:99], s[24:25], v[86:87], v[96:97]
	v_add_f64 v[92:93], v[92:93], v[100:101]
	v_fmac_f64_e32 v[96:97], s[2:3], v[86:87]
	v_mul_f64 v[100:101], v[84:85], s[38:39]
	v_add_f64 v[94:95], v[94:95], v[102:103]
	v_add_f64 v[96:97], v[96:97], v[104:105]
	v_fma_f64 v[102:103], s[36:37], v[48:49], v[100:101]
	v_mul_f64 v[104:105], v[50:51], s[36:37]
	v_fma_f64 v[100:101], v[48:49], s[36:37], -v[100:101]
	v_add_f64 v[98:99], v[98:99], v[108:109]
	v_fma_f64 v[108:109], s[34:35], v[86:87], v[104:105]
	v_add_f64 v[100:101], v[100:101], v[106:107]
	v_fmac_f64_e32 v[104:105], s[38:39], v[86:87]
	v_mul_f64 v[106:107], v[84:85], s[14:15]
	v_add_f64 v[102:103], v[102:103], v[110:111]
	v_add_f64 v[104:105], v[104:105], v[112:113]
	v_fma_f64 v[110:111], s[10:11], v[48:49], v[106:107]
	v_mul_f64 v[112:113], v[50:51], s[10:11]
	v_fma_f64 v[106:107], v[48:49], s[10:11], -v[106:107]
	v_add_f64 v[108:109], v[108:109], v[114:115]
	v_fma_f64 v[114:115], s[8:9], v[86:87], v[112:113]
	v_add_f64 v[106:107], v[106:107], v[124:125]
	v_fmac_f64_e32 v[112:113], s[14:15], v[86:87]
	v_mul_f64 v[124:125], v[84:85], s[18:19]
	v_add_f64 v[110:111], v[110:111], v[126:127]
	v_add_f64 v[112:113], v[112:113], v[128:129]
	v_fma_f64 v[126:127], s[20:21], v[48:49], v[124:125]
	v_mul_f64 v[128:129], v[50:51], s[20:21]
	v_mul_f64 v[50:51], v[50:51], s[28:29]
	v_add_f64 v[126:127], v[126:127], v[166:167]
	v_fma_f64 v[124:125], v[48:49], s[20:21], -v[124:125]
	v_mul_f64 v[84:85], v[84:85], s[26:27]
	v_fma_f64 v[166:167], s[30:31], v[86:87], v[50:51]
	v_fmac_f64_e32 v[50:51], s[26:27], v[86:87]
	v_add_f64 v[124:125], v[124:125], v[164:165]
	v_fma_f64 v[164:165], s[28:29], v[48:49], v[84:85]
	v_fma_f64 v[48:49], v[48:49], s[28:29], -v[84:85]
	v_add_f64 v[0:1], v[50:51], v[0:1]
	v_add_f64 v[50:51], v[62:63], v[74:75]
	v_add_f64 v[62:63], v[62:63], -v[74:75]
	v_add_f64 v[2:3], v[48:49], v[2:3]
	v_add_f64 v[48:49], v[60:61], v[72:73]
	v_add_f64 v[60:61], v[60:61], -v[72:73]
	v_mul_f64 v[72:73], v[62:63], s[26:27]
	v_fma_f64 v[74:75], s[28:29], v[48:49], v[72:73]
	v_mul_f64 v[84:85], v[50:51], s[28:29]
	v_fma_f64 v[72:73], v[48:49], s[28:29], -v[72:73]
	v_add_f64 v[114:115], v[114:115], v[130:131]
	v_fma_f64 v[130:131], s[22:23], v[86:87], v[128:129]
	v_fmac_f64_e32 v[128:129], s[18:19], v[86:87]
	v_fma_f64 v[86:87], s[30:31], v[60:61], v[84:85]
	v_add_f64 v[92:93], v[72:73], v[92:93]
	v_fmac_f64_e32 v[84:85], s[26:27], v[60:61]
	v_mul_f64 v[72:73], v[62:63], s[24:25]
	v_add_f64 v[74:75], v[74:75], v[94:95]
	v_add_f64 v[84:85], v[84:85], v[96:97]
	v_fma_f64 v[94:95], s[16:17], v[48:49], v[72:73]
	v_mul_f64 v[96:97], v[50:51], s[16:17]
	v_fma_f64 v[72:73], v[48:49], s[16:17], -v[72:73]
	v_add_f64 v[86:87], v[86:87], v[98:99]
	v_fma_f64 v[98:99], s[2:3], v[60:61], v[96:97]
	v_add_f64 v[100:101], v[72:73], v[100:101]
	v_fmac_f64_e32 v[96:97], s[24:25], v[60:61]
	v_mul_f64 v[72:73], v[62:63], s[18:19]
	v_add_f64 v[94:95], v[94:95], v[102:103]
	v_add_f64 v[96:97], v[96:97], v[104:105]
	v_fma_f64 v[102:103], s[20:21], v[48:49], v[72:73]
	v_mul_f64 v[104:105], v[50:51], s[20:21]
	v_fma_f64 v[72:73], v[48:49], s[20:21], -v[72:73]
	v_add_f64 v[98:99], v[98:99], v[108:109]
	v_fma_f64 v[108:109], s[22:23], v[60:61], v[104:105]
	v_add_f64 v[106:107], v[72:73], v[106:107]
	v_fmac_f64_e32 v[104:105], s[18:19], v[60:61]
	v_mul_f64 v[72:73], v[62:63], s[34:35]
	v_add_f64 v[170:171], v[170:171], v[178:179]
	v_add_f64 v[168:169], v[168:169], v[176:177]
	;; [unrolled: 1-line block ×5, first 2 shown]
	v_fma_f64 v[110:111], s[36:37], v[48:49], v[72:73]
	v_mul_f64 v[112:113], v[50:51], s[36:37]
	v_fma_f64 v[72:73], v[48:49], s[36:37], -v[72:73]
	v_mul_f64 v[62:63], v[62:63], s[14:15]
	v_add_f64 v[130:131], v[130:131], v[170:171]
	v_add_f64 v[128:129], v[128:129], v[168:169]
	;; [unrolled: 1-line block ×4, first 2 shown]
	v_fma_f64 v[114:115], s[38:39], v[60:61], v[112:113]
	v_add_f64 v[124:125], v[72:73], v[124:125]
	v_fma_f64 v[72:73], s[10:11], v[48:49], v[62:63]
	v_mul_f64 v[50:51], v[50:51], s[10:11]
	v_fma_f64 v[48:49], v[48:49], s[10:11], -v[62:63]
	v_add_f64 v[168:169], v[54:55], -v[58:59]
	v_add_f64 v[174:175], v[174:175], v[182:183]
	v_add_f64 v[110:111], v[110:111], v[126:127]
	v_add_f64 v[114:115], v[114:115], v[130:131]
	v_add_f64 v[126:127], v[72:73], v[164:165]
	v_fma_f64 v[72:73], s[8:9], v[60:61], v[50:51]
	v_add_f64 v[2:3], v[48:49], v[2:3]
	v_fmac_f64_e32 v[50:51], s[14:15], v[60:61]
	v_add_f64 v[130:131], v[52:53], v[56:57]
	v_mul_f64 v[48:49], v[168:169], s[34:35]
	v_add_f64 v[166:167], v[166:167], v[174:175]
	v_fmac_f64_e32 v[112:113], s[34:35], v[60:61]
	v_add_f64 v[0:1], v[50:51], v[0:1]
	v_add_f64 v[164:165], v[54:55], v[58:59]
	v_fma_f64 v[50:51], s[36:37], v[130:131], v[48:49]
	v_add_f64 v[112:113], v[112:113], v[128:129]
	v_add_f64 v[128:129], v[72:73], v[166:167]
	v_add_f64 v[166:167], v[52:53], -v[56:57]
	v_add_f64 v[72:73], v[50:51], v[74:75]
	v_mul_f64 v[50:51], v[164:165], s[36:37]
	v_fma_f64 v[52:53], s[38:39], v[166:167], v[50:51]
	v_add_f64 v[74:75], v[52:53], v[86:87]
	v_mul_f64 v[52:53], v[168:169], s[22:23]
	v_fmac_f64_e32 v[50:51], s[34:35], v[166:167]
	v_fma_f64 v[54:55], s[20:21], v[130:131], v[52:53]
	v_add_f64 v[50:51], v[50:51], v[84:85]
	v_add_f64 v[84:85], v[54:55], v[94:95]
	v_mul_f64 v[54:55], v[164:165], s[20:21]
	v_fma_f64 v[56:57], s[18:19], v[166:167], v[54:55]
	v_fma_f64 v[52:53], v[130:131], s[20:21], -v[52:53]
	v_add_f64 v[86:87], v[56:57], v[98:99]
	v_add_f64 v[56:57], v[52:53], v[100:101]
	v_fmac_f64_e32 v[54:55], s[22:23], v[166:167]
	v_mul_f64 v[52:53], v[168:169], s[26:27]
	v_fma_f64 v[48:49], v[130:131], s[36:37], -v[48:49]
	v_add_f64 v[58:59], v[54:55], v[96:97]
	v_fma_f64 v[54:55], s[28:29], v[130:131], v[52:53]
	v_add_f64 v[48:49], v[48:49], v[92:93]
	v_add_f64 v[92:93], v[54:55], v[102:103]
	v_mul_f64 v[54:55], v[164:165], s[28:29]
	v_fma_f64 v[60:61], s[30:31], v[166:167], v[54:55]
	v_fma_f64 v[52:53], v[130:131], s[28:29], -v[52:53]
	v_add_f64 v[94:95], v[60:61], v[108:109]
	v_add_f64 v[60:61], v[52:53], v[106:107]
	v_fmac_f64_e32 v[54:55], s[26:27], v[166:167]
	v_mul_f64 v[52:53], v[168:169], s[14:15]
	v_add_f64 v[62:63], v[54:55], v[104:105]
	v_fma_f64 v[54:55], s[10:11], v[130:131], v[52:53]
	v_add_f64 v[96:97], v[54:55], v[110:111]
	v_mul_f64 v[54:55], v[164:165], s[10:11]
	v_mul_f64 v[104:105], v[168:169], s[2:3]
	;; [unrolled: 1-line block ×3, first 2 shown]
	v_fma_f64 v[98:99], s[8:9], v[166:167], v[54:55]
	v_fma_f64 v[100:101], s[16:17], v[130:131], v[104:105]
	;; [unrolled: 1-line block ×3, first 2 shown]
	v_fma_f64 v[104:105], v[130:131], s[16:17], -v[104:105]
	v_fmac_f64_e32 v[106:107], s[2:3], v[166:167]
	v_add_f64 v[98:99], v[98:99], v[114:115]
	v_fma_f64 v[52:53], v[130:131], s[10:11], -v[52:53]
	v_fmac_f64_e32 v[54:55], s[14:15], v[166:167]
	v_add_f64 v[100:101], v[100:101], v[126:127]
	v_add_f64 v[102:103], v[102:103], v[128:129]
	;; [unrolled: 1-line block ×6, first 2 shown]
	s_barrier
	ds_write_b128 v224, v[64:67]
	ds_write_b128 v224, v[72:75] offset:352
	ds_write_b128 v224, v[84:87] offset:704
	;; [unrolled: 1-line block ×10, first 2 shown]
	s_waitcnt lgkmcnt(0)
	s_barrier
	ds_read_b128 v[64:67], v212
	ds_read_b128 v[104:107], v212 offset:3872
	ds_read_b128 v[100:103], v212 offset:7744
	;; [unrolled: 1-line block ×6, first 2 shown]
	s_and_saveexec_b64 s[2:3], s[0:1]
	s_cbranch_execz .LBB0_15
; %bb.14:
	ds_read_b128 v[52:55], v212 offset:2464
	ds_read_b128 v[60:63], v212 offset:6336
	;; [unrolled: 1-line block ×7, first 2 shown]
.LBB0_15:
	s_or_b64 exec, exec, s[2:3]
	s_waitcnt lgkmcnt(5)
	v_mul_f64 v[0:1], v[146:147], v[106:107]
	v_fmac_f64_e32 v[0:1], v[144:145], v[104:105]
	v_mul_f64 v[2:3], v[146:147], v[104:105]
	s_waitcnt lgkmcnt(4)
	v_mul_f64 v[104:105], v[142:143], v[102:103]
	v_fmac_f64_e32 v[104:105], v[140:141], v[100:101]
	v_mul_f64 v[100:101], v[142:143], v[100:101]
	v_fma_f64 v[100:101], v[140:141], v[102:103], -v[100:101]
	s_waitcnt lgkmcnt(3)
	v_mul_f64 v[102:103], v[138:139], v[98:99]
	v_fmac_f64_e32 v[102:103], v[136:137], v[96:97]
	v_mul_f64 v[96:97], v[138:139], v[96:97]
	v_fma_f64 v[96:97], v[136:137], v[98:99], -v[96:97]
	;; [unrolled: 5-line block ×5, first 2 shown]
	v_fma_f64 v[72:73], v[148:149], v[74:75], -v[72:73]
	v_add_f64 v[74:75], v[0:1], v[86:87]
	v_add_f64 v[106:107], v[2:3], v[72:73]
	v_add_f64 v[2:3], v[2:3], -v[72:73]
	v_add_f64 v[72:73], v[104:105], v[94:95]
	v_add_f64 v[0:1], v[0:1], -v[86:87]
	;; [unrolled: 2-line block ×3, first 2 shown]
	v_add_f64 v[84:85], v[100:101], -v[84:85]
	v_add_f64 v[100:101], v[102:103], v[98:99]
	v_add_f64 v[104:105], v[96:97], v[92:93]
	v_add_f64 v[92:93], v[92:93], -v[96:97]
	v_add_f64 v[96:97], v[72:73], v[74:75]
	v_add_f64 v[98:99], v[98:99], -v[102:103]
	v_add_f64 v[102:103], v[86:87], v[106:107]
	v_add_f64 v[96:97], v[100:101], v[96:97]
	v_add_f64 v[108:109], v[72:73], -v[74:75]
	v_add_f64 v[74:75], v[74:75], -v[100:101]
	;; [unrolled: 1-line block ×3, first 2 shown]
	v_add_f64 v[100:101], v[104:105], v[102:103]
	v_add_f64 v[64:65], v[64:65], v[96:97]
	s_mov_b32 s10, 0x37e14327
	s_mov_b32 s14, 0x36b3c0b5
	;; [unrolled: 1-line block ×5, first 2 shown]
	v_add_f64 v[110:111], v[86:87], -v[106:107]
	v_add_f64 v[106:107], v[106:107], -v[104:105]
	;; [unrolled: 1-line block ×3, first 2 shown]
	v_add_f64 v[112:113], v[98:99], v[94:95]
	v_add_f64 v[114:115], v[92:93], v[84:85]
	v_add_f64 v[124:125], v[98:99], -v[94:95]
	v_add_f64 v[126:127], v[92:93], -v[84:85]
	;; [unrolled: 1-line block ×4, first 2 shown]
	v_add_f64 v[66:67], v[66:67], v[100:101]
	s_mov_b32 s11, 0x3fe948f6
	s_mov_b32 s15, 0x3fac98ee
	;; [unrolled: 1-line block ×5, first 2 shown]
	v_mov_b64_e32 v[128:129], v[64:65]
	s_mov_b32 s8, 0x5476071b
	s_mov_b32 s26, 0xb247c609
	v_add_f64 v[98:99], v[0:1], -v[98:99]
	v_add_f64 v[92:93], v[2:3], -v[92:93]
	v_add_f64 v[0:1], v[112:113], v[0:1]
	v_add_f64 v[2:3], v[114:115], v[2:3]
	v_mul_f64 v[74:75], v[74:75], s[10:11]
	v_mul_f64 v[102:103], v[106:107], s[10:11]
	;; [unrolled: 1-line block ×8, first 2 shown]
	v_fmac_f64_e32 v[128:129], s[24:25], v[96:97]
	v_mov_b64_e32 v[96:97], v[66:67]
	s_mov_b32 s9, 0x3fe77f67
	s_mov_b32 s19, 0xbfe77f67
	;; [unrolled: 1-line block ×7, first 2 shown]
	v_fmac_f64_e32 v[96:97], s[24:25], v[100:101]
	v_fma_f64 v[100:101], v[108:109], s[8:9], -v[104:105]
	v_fma_f64 v[104:105], v[110:111], s[8:9], -v[106:107]
	;; [unrolled: 1-line block ×3, first 2 shown]
	v_fmac_f64_e32 v[74:75], s[14:15], v[72:73]
	v_fma_f64 v[72:73], v[110:111], s[18:19], -v[102:103]
	v_fmac_f64_e32 v[102:103], s[14:15], v[86:87]
	v_fma_f64 v[108:109], v[94:95], s[2:3], -v[112:113]
	;; [unrolled: 2-line block ×4, first 2 shown]
	v_fma_f64 v[126:127], v[92:93], s[22:23], -v[126:127]
	s_mov_b32 s21, 0xbfdc38aa
	v_add_f64 v[130:131], v[74:75], v[128:129]
	v_add_f64 v[132:133], v[102:103], v[96:97]
	;; [unrolled: 1-line block ×6, first 2 shown]
	v_fmac_f64_e32 v[112:113], s[20:21], v[0:1]
	v_fmac_f64_e32 v[114:115], s[20:21], v[2:3]
	;; [unrolled: 1-line block ×6, first 2 shown]
	v_add_f64 v[72:73], v[114:115], v[130:131]
	v_add_f64 v[74:75], v[132:133], -v[112:113]
	v_add_f64 v[84:85], v[126:127], v[102:103]
	v_add_f64 v[86:87], v[104:105], -v[124:125]
	v_add_f64 v[92:93], v[98:99], -v[110:111]
	v_add_f64 v[94:95], v[108:109], v[100:101]
	v_add_f64 v[96:97], v[110:111], v[98:99]
	v_add_f64 v[98:99], v[100:101], -v[108:109]
	v_add_f64 v[100:101], v[102:103], -v[126:127]
	v_add_f64 v[102:103], v[124:125], v[104:105]
	v_add_f64 v[104:105], v[130:131], -v[114:115]
	v_add_f64 v[106:107], v[112:113], v[132:133]
	ds_write_b128 v212, v[64:67]
	ds_write_b128 v212, v[72:75] offset:3872
	ds_write_b128 v212, v[84:87] offset:7744
	;; [unrolled: 1-line block ×6, first 2 shown]
	s_and_saveexec_b64 s[28:29], s[0:1]
	s_cbranch_execz .LBB0_17
; %bb.16:
	v_mul_f64 v[0:1], v[90:91], v[62:63]
	v_fmac_f64_e32 v[0:1], v[88:89], v[60:61]
	v_mul_f64 v[86:87], v[82:83], v[58:59]
	v_mul_f64 v[60:61], v[90:91], v[60:61]
	;; [unrolled: 1-line block ×4, first 2 shown]
	v_fmac_f64_e32 v[86:87], v[80:81], v[56:57]
	v_mul_f64 v[100:101], v[122:123], v[160:161]
	v_fma_f64 v[60:61], v[88:89], v[62:63], -v[60:61]
	v_mul_f64 v[88:89], v[118:119], v[156:157]
	v_mul_f64 v[56:57], v[82:83], v[56:57]
	v_fmac_f64_e32 v[66:67], v[68:69], v[44:45]
	v_fmac_f64_e32 v[72:73], v[76:77], v[48:49]
	v_fma_f64 v[100:101], v[120:121], v[162:163], -v[100:101]
	v_fma_f64 v[88:89], v[116:117], v[158:159], -v[88:89]
	;; [unrolled: 1-line block ×3, first 2 shown]
	v_mul_f64 v[48:49], v[78:79], v[48:49]
	v_mul_f64 v[44:45], v[70:71], v[44:45]
	v_add_f64 v[62:63], v[60:61], v[100:101]
	v_add_f64 v[58:59], v[56:57], v[88:89]
	v_fma_f64 v[48:49], v[76:77], v[50:51], -v[48:49]
	v_fma_f64 v[68:69], v[68:69], v[46:47], -v[44:45]
	v_add_f64 v[80:81], v[58:59], v[62:63]
	v_add_f64 v[44:45], v[48:49], v[68:69]
	;; [unrolled: 1-line block ×4, first 2 shown]
	v_mov_b64_e32 v[70:71], v[46:47]
	v_mul_f64 v[2:3], v[122:123], v[162:163]
	v_mul_f64 v[92:93], v[118:119], v[158:159]
	v_fmac_f64_e32 v[70:71], s[24:25], v[50:51]
	v_add_f64 v[50:51], v[62:63], -v[44:45]
	v_fmac_f64_e32 v[2:3], v[120:121], v[160:161]
	v_fmac_f64_e32 v[92:93], v[116:117], v[156:157]
	v_mul_f64 v[54:55], v[50:51], s[10:11]
	v_add_f64 v[44:45], v[44:45], -v[58:59]
	v_add_f64 v[64:65], v[0:1], -v[2:3]
	v_mul_f64 v[76:77], v[44:45], s[14:15]
	v_fma_f64 v[44:45], s[14:15], v[44:45], v[54:55]
	v_add_f64 v[0:1], v[0:1], v[2:3]
	v_add_f64 v[2:3], v[86:87], v[92:93]
	v_add_f64 v[74:75], v[66:67], -v[72:73]
	v_add_f64 v[78:79], v[44:45], v[70:71]
	v_add_f64 v[44:45], v[2:3], v[0:1]
	;; [unrolled: 1-line block ×5, first 2 shown]
	v_add_f64 v[52:53], v[0:1], -v[66:67]
	v_add_f64 v[94:95], v[86:87], -v[92:93]
	v_mov_b64_e32 v[80:81], v[44:45]
	v_mul_f64 v[52:53], v[52:53], s[10:11]
	v_add_f64 v[66:67], v[66:67], -v[2:3]
	v_add_f64 v[84:85], v[64:65], -v[74:75]
	;; [unrolled: 1-line block ×3, first 2 shown]
	v_add_f64 v[74:75], v[74:75], v[94:95]
	v_fmac_f64_e32 v[80:81], s[24:25], v[72:73]
	v_mul_f64 v[72:73], v[66:67], s[14:15]
	v_fma_f64 v[66:67], s[14:15], v[66:67], v[52:53]
	v_add_f64 v[60:61], v[60:61], -v[100:101]
	v_add_f64 v[48:49], v[68:69], -v[48:49]
	;; [unrolled: 1-line block ×3, first 2 shown]
	v_add_f64 v[74:75], v[74:75], v[64:65]
	v_add_f64 v[82:83], v[66:67], v[80:81]
	v_add_f64 v[66:67], v[60:61], -v[48:49]
	v_add_f64 v[68:69], v[48:49], -v[56:57]
	v_add_f64 v[48:49], v[48:49], v[56:57]
	v_add_f64 v[64:65], v[94:95], -v[64:65]
	v_add_f64 v[0:1], v[2:3], -v[0:1]
	v_add_f64 v[56:57], v[56:57], -v[60:61]
	v_mul_f64 v[96:97], v[96:97], s[16:17]
	v_mul_f64 v[68:69], v[68:69], s[16:17]
	;; [unrolled: 1-line block ×3, first 2 shown]
	v_add_f64 v[58:59], v[58:59], -v[62:63]
	v_fma_f64 v[2:3], v[0:1], s[18:19], -v[52:53]
	v_mul_f64 v[52:53], v[56:57], s[2:3]
	v_fma_f64 v[98:99], s[26:27], v[84:85], v[96:97]
	v_fma_f64 v[86:87], s[26:27], v[66:67], v[68:69]
	v_add_f64 v[88:89], v[48:49], v[60:61]
	v_fma_f64 v[84:85], v[84:85], s[22:23], -v[90:91]
	v_fma_f64 v[54:55], v[58:59], s[18:19], -v[54:55]
	;; [unrolled: 1-line block ×7, first 2 shown]
	v_fmac_f64_e32 v[98:99], s[20:21], v[74:75]
	v_fmac_f64_e32 v[86:87], s[20:21], v[88:89]
	;; [unrolled: 1-line block ×3, first 2 shown]
	v_add_f64 v[90:91], v[54:55], v[70:71]
	v_add_f64 v[2:3], v[2:3], v[80:81]
	v_fmac_f64_e32 v[92:93], s[20:21], v[88:89]
	v_add_f64 v[60:61], v[58:59], v[70:71]
	v_fmac_f64_e32 v[62:63], s[20:21], v[74:75]
	;; [unrolled: 2-line block ×3, first 2 shown]
	v_add_f64 v[50:51], v[98:99], v[78:79]
	v_add_f64 v[48:49], v[82:83], -v[86:87]
	v_add_f64 v[54:55], v[84:85], v[90:91]
	v_add_f64 v[52:53], v[2:3], -v[92:93]
	v_add_f64 v[58:59], v[60:61], -v[62:63]
	v_add_f64 v[56:57], v[64:65], v[0:1]
	v_add_f64 v[62:63], v[62:63], v[60:61]
	v_add_f64 v[60:61], v[0:1], -v[64:65]
	v_add_f64 v[66:67], v[90:91], -v[84:85]
	v_add_f64 v[64:65], v[92:93], v[2:3]
	v_add_f64 v[70:71], v[78:79], -v[98:99]
	v_add_f64 v[68:69], v[86:87], v[82:83]
	ds_write_b128 v212, v[44:47] offset:2464
	ds_write_b128 v212, v[68:71] offset:6336
	;; [unrolled: 1-line block ×7, first 2 shown]
.LBB0_17:
	s_or_b64 exec, exec, s[28:29]
	s_waitcnt lgkmcnt(0)
	s_barrier
	ds_read_b128 v[44:47], v212
	v_mad_u64_u32 v[2:3], s[0:1], s6, v216, 0
	v_mov_b32_e32 v48, v3
	v_mad_u64_u32 v[48:49], s[0:1], s7, v216, v[48:49]
	v_mov_b32_e32 v3, v48
	ds_read_b128 v[48:51], v212 offset:2464
	s_waitcnt lgkmcnt(1)
	v_mul_f64 v[52:53], v[6:7], v[46:47]
	s_mov_b32 s0, 0xe9078e5b
	v_mul_f64 v[6:7], v[6:7], v[44:45]
	v_fmac_f64_e32 v[52:53], v[4:5], v[44:45]
	s_mov_b32 s1, 0x3f4357f3
	v_fma_f64 v[4:5], v[4:5], v[46:47], -v[6:7]
	v_mul_f64 v[54:55], v[4:5], s[0:1]
	v_mad_u64_u32 v[4:5], s[2:3], s4, v214, 0
	v_accvgpr_read_b32 v47, a3
	v_mov_b32_e32 v0, s12
	v_mov_b32_e32 v1, s13
	;; [unrolled: 1-line block ×3, first 2 shown]
	v_accvgpr_read_b32 v46, a2
	v_mad_u64_u32 v[6:7], s[2:3], s5, v214, v[6:7]
	v_lshl_add_u64 v[0:1], v[2:3], 4, v[0:1]
	v_accvgpr_read_b32 v45, a1
	v_accvgpr_read_b32 v44, a0
	s_waitcnt lgkmcnt(0)
	v_mul_f64 v[2:3], v[46:47], v[50:51]
	v_mov_b32_e32 v5, v6
	v_fmac_f64_e32 v[2:3], v[44:45], v[48:49]
	v_lshl_add_u64 v[0:1], v[4:5], 4, v[0:1]
	v_mul_f64 v[4:5], v[2:3], s[0:1]
	v_mul_f64 v[2:3], v[46:47], v[48:49]
	;; [unrolled: 1-line block ×3, first 2 shown]
	v_fma_f64 v[2:3], v[44:45], v[50:51], -v[2:3]
	v_mov_b32_e32 v50, 0x9a0
	global_store_dwordx4 v[0:1], v[52:55], off
	v_mul_f64 v[6:7], v[2:3], s[0:1]
	v_mad_u64_u32 v[48:49], s[2:3], s4, v50, v[0:1]
	ds_read_b128 v[0:3], v212 offset:4928
	s_mul_i32 s2, s5, 0x9a0
	v_add_u32_e32 v49, s2, v49
	global_store_dwordx4 v[48:49], v[4:7], off
	ds_read_b128 v[4:7], v212 offset:7392
	s_waitcnt lgkmcnt(1)
	v_mul_f64 v[44:45], v[42:43], v[2:3]
	v_fmac_f64_e32 v[44:45], v[40:41], v[0:1]
	v_mul_f64 v[0:1], v[42:43], v[0:1]
	v_fma_f64 v[0:1], v[40:41], v[2:3], -v[0:1]
	v_mul_f64 v[46:47], v[0:1], s[0:1]
	v_mad_u64_u32 v[40:41], s[6:7], s4, v50, v[48:49]
	s_waitcnt lgkmcnt(0)
	v_mul_f64 v[0:1], v[38:39], v[6:7]
	v_mul_f64 v[2:3], v[38:39], v[4:5]
	;; [unrolled: 1-line block ×3, first 2 shown]
	v_add_u32_e32 v41, s2, v41
	v_fmac_f64_e32 v[0:1], v[36:37], v[4:5]
	v_fma_f64 v[2:3], v[36:37], v[6:7], -v[2:3]
	ds_read_b128 v[4:7], v212 offset:9856
	global_store_dwordx4 v[40:41], v[44:47], off
	v_mad_u64_u32 v[40:41], s[6:7], s4, v50, v[40:41]
	v_mul_f64 v[0:1], v[0:1], s[0:1]
	v_mul_f64 v[2:3], v[2:3], s[0:1]
	v_add_u32_e32 v41, s2, v41
	global_store_dwordx4 v[40:41], v[0:3], off
	ds_read_b128 v[0:3], v212 offset:12320
	s_waitcnt lgkmcnt(1)
	v_mul_f64 v[36:37], v[34:35], v[6:7]
	v_fmac_f64_e32 v[36:37], v[32:33], v[4:5]
	v_mul_f64 v[4:5], v[34:35], v[4:5]
	v_fma_f64 v[4:5], v[32:33], v[6:7], -v[4:5]
	v_mul_f64 v[38:39], v[4:5], s[0:1]
	s_waitcnt lgkmcnt(0)
	v_mul_f64 v[4:5], v[30:31], v[2:3]
	v_fmac_f64_e32 v[4:5], v[28:29], v[0:1]
	v_mul_f64 v[0:1], v[30:31], v[0:1]
	v_mad_u64_u32 v[32:33], s[6:7], s4, v50, v[40:41]
	v_fma_f64 v[0:1], v[28:29], v[2:3], -v[0:1]
	v_mul_f64 v[36:37], v[36:37], s[0:1]
	v_add_u32_e32 v33, s2, v33
	v_mul_f64 v[6:7], v[0:1], s[0:1]
	ds_read_b128 v[0:3], v212 offset:14784
	global_store_dwordx4 v[32:33], v[36:39], off
	v_mad_u64_u32 v[32:33], s[6:7], s4, v50, v[32:33]
	v_mul_f64 v[4:5], v[4:5], s[0:1]
	v_add_u32_e32 v33, s2, v33
	global_store_dwordx4 v[32:33], v[4:7], off
	ds_read_b128 v[4:7], v212 offset:17248
	s_waitcnt lgkmcnt(1)
	v_mul_f64 v[28:29], v[14:15], v[2:3]
	v_fmac_f64_e32 v[28:29], v[12:13], v[0:1]
	v_mul_f64 v[0:1], v[14:15], v[0:1]
	v_fma_f64 v[0:1], v[12:13], v[2:3], -v[0:1]
	v_mul_f64 v[30:31], v[0:1], s[0:1]
	v_mad_u64_u32 v[12:13], s[6:7], s4, v50, v[32:33]
	s_waitcnt lgkmcnt(0)
	v_mul_f64 v[0:1], v[10:11], v[6:7]
	v_mul_f64 v[2:3], v[10:11], v[4:5]
	;; [unrolled: 1-line block ×3, first 2 shown]
	v_add_u32_e32 v13, s2, v13
	v_fmac_f64_e32 v[0:1], v[8:9], v[4:5]
	v_fma_f64 v[2:3], v[8:9], v[6:7], -v[2:3]
	ds_read_b128 v[4:7], v212 offset:19712
	global_store_dwordx4 v[12:13], v[28:31], off
	v_mad_u64_u32 v[12:13], s[6:7], s4, v50, v[12:13]
	v_mul_f64 v[0:1], v[0:1], s[0:1]
	v_mul_f64 v[2:3], v[2:3], s[0:1]
	v_add_u32_e32 v13, s2, v13
	global_store_dwordx4 v[12:13], v[0:3], off
	ds_read_b128 v[0:3], v212 offset:22176
	s_waitcnt lgkmcnt(1)
	v_mul_f64 v[8:9], v[26:27], v[6:7]
	v_fmac_f64_e32 v[8:9], v[24:25], v[4:5]
	v_mul_f64 v[4:5], v[26:27], v[4:5]
	v_fma_f64 v[4:5], v[24:25], v[6:7], -v[4:5]
	v_mul_f64 v[10:11], v[4:5], s[0:1]
	s_waitcnt lgkmcnt(0)
	v_mul_f64 v[4:5], v[18:19], v[2:3]
	v_fmac_f64_e32 v[4:5], v[16:17], v[0:1]
	v_mul_f64 v[0:1], v[18:19], v[0:1]
	v_fma_f64 v[0:1], v[16:17], v[2:3], -v[0:1]
	v_mul_f64 v[6:7], v[0:1], s[0:1]
	ds_read_b128 v[0:3], v212 offset:24640
	v_mad_u64_u32 v[12:13], s[6:7], s4, v50, v[12:13]
	v_mul_f64 v[8:9], v[8:9], s[0:1]
	v_add_u32_e32 v13, s2, v13
	global_store_dwordx4 v[12:13], v[8:11], off
	v_mul_f64 v[4:5], v[4:5], s[0:1]
	s_nop 0
	v_mad_u64_u32 v[8:9], s[6:7], s4, v50, v[12:13]
	v_add_u32_e32 v9, s2, v9
	global_store_dwordx4 v[8:9], v[4:7], off
	s_waitcnt lgkmcnt(0)
	s_nop 0
	v_mul_f64 v[4:5], v[22:23], v[2:3]
	v_fmac_f64_e32 v[4:5], v[20:21], v[0:1]
	v_mul_f64 v[0:1], v[22:23], v[0:1]
	v_fma_f64 v[0:1], v[20:21], v[2:3], -v[0:1]
	v_mul_f64 v[4:5], v[4:5], s[0:1]
	v_mul_f64 v[6:7], v[0:1], s[0:1]
	v_mad_u64_u32 v[0:1], s[0:1], s4, v50, v[8:9]
	v_add_u32_e32 v1, s2, v1
	global_store_dwordx4 v[0:1], v[4:7], off
.LBB0_18:
	s_endpgm
	.section	.rodata,"a",@progbits
	.p2align	6, 0x0
	.amdhsa_kernel bluestein_single_back_len1694_dim1_dp_op_CI_CI
		.amdhsa_group_segment_fixed_size 27104
		.amdhsa_private_segment_fixed_size 0
		.amdhsa_kernarg_size 104
		.amdhsa_user_sgpr_count 2
		.amdhsa_user_sgpr_dispatch_ptr 0
		.amdhsa_user_sgpr_queue_ptr 0
		.amdhsa_user_sgpr_kernarg_segment_ptr 1
		.amdhsa_user_sgpr_dispatch_id 0
		.amdhsa_user_sgpr_kernarg_preload_length 0
		.amdhsa_user_sgpr_kernarg_preload_offset 0
		.amdhsa_user_sgpr_private_segment_size 0
		.amdhsa_uses_dynamic_stack 0
		.amdhsa_enable_private_segment 0
		.amdhsa_system_sgpr_workgroup_id_x 1
		.amdhsa_system_sgpr_workgroup_id_y 0
		.amdhsa_system_sgpr_workgroup_id_z 0
		.amdhsa_system_sgpr_workgroup_info 0
		.amdhsa_system_vgpr_workitem_id 0
		.amdhsa_next_free_vgpr 265
		.amdhsa_next_free_sgpr 40
		.amdhsa_accum_offset 256
		.amdhsa_reserve_vcc 1
		.amdhsa_float_round_mode_32 0
		.amdhsa_float_round_mode_16_64 0
		.amdhsa_float_denorm_mode_32 3
		.amdhsa_float_denorm_mode_16_64 3
		.amdhsa_dx10_clamp 1
		.amdhsa_ieee_mode 1
		.amdhsa_fp16_overflow 0
		.amdhsa_tg_split 0
		.amdhsa_exception_fp_ieee_invalid_op 0
		.amdhsa_exception_fp_denorm_src 0
		.amdhsa_exception_fp_ieee_div_zero 0
		.amdhsa_exception_fp_ieee_overflow 0
		.amdhsa_exception_fp_ieee_underflow 0
		.amdhsa_exception_fp_ieee_inexact 0
		.amdhsa_exception_int_div_zero 0
	.end_amdhsa_kernel
	.text
.Lfunc_end0:
	.size	bluestein_single_back_len1694_dim1_dp_op_CI_CI, .Lfunc_end0-bluestein_single_back_len1694_dim1_dp_op_CI_CI
                                        ; -- End function
	.section	.AMDGPU.csdata,"",@progbits
; Kernel info:
; codeLenInByte = 19864
; NumSgprs: 46
; NumVgprs: 256
; NumAgprs: 9
; TotalNumVgprs: 265
; ScratchSize: 0
; MemoryBound: 0
; FloatMode: 240
; IeeeMode: 1
; LDSByteSize: 27104 bytes/workgroup (compile time only)
; SGPRBlocks: 5
; VGPRBlocks: 33
; NumSGPRsForWavesPerEU: 46
; NumVGPRsForWavesPerEU: 265
; AccumOffset: 256
; Occupancy: 1
; WaveLimiterHint : 1
; COMPUTE_PGM_RSRC2:SCRATCH_EN: 0
; COMPUTE_PGM_RSRC2:USER_SGPR: 2
; COMPUTE_PGM_RSRC2:TRAP_HANDLER: 0
; COMPUTE_PGM_RSRC2:TGID_X_EN: 1
; COMPUTE_PGM_RSRC2:TGID_Y_EN: 0
; COMPUTE_PGM_RSRC2:TGID_Z_EN: 0
; COMPUTE_PGM_RSRC2:TIDIG_COMP_CNT: 0
; COMPUTE_PGM_RSRC3_GFX90A:ACCUM_OFFSET: 63
; COMPUTE_PGM_RSRC3_GFX90A:TG_SPLIT: 0
	.text
	.p2alignl 6, 3212836864
	.fill 256, 4, 3212836864
	.type	__hip_cuid_1425de33926af2ed,@object ; @__hip_cuid_1425de33926af2ed
	.section	.bss,"aw",@nobits
	.globl	__hip_cuid_1425de33926af2ed
__hip_cuid_1425de33926af2ed:
	.byte	0                               ; 0x0
	.size	__hip_cuid_1425de33926af2ed, 1

	.ident	"AMD clang version 19.0.0git (https://github.com/RadeonOpenCompute/llvm-project roc-6.4.0 25133 c7fe45cf4b819c5991fe208aaa96edf142730f1d)"
	.section	".note.GNU-stack","",@progbits
	.addrsig
	.addrsig_sym __hip_cuid_1425de33926af2ed
	.amdgpu_metadata
---
amdhsa.kernels:
  - .agpr_count:     9
    .args:
      - .actual_access:  read_only
        .address_space:  global
        .offset:         0
        .size:           8
        .value_kind:     global_buffer
      - .actual_access:  read_only
        .address_space:  global
        .offset:         8
        .size:           8
        .value_kind:     global_buffer
      - .actual_access:  read_only
        .address_space:  global
        .offset:         16
        .size:           8
        .value_kind:     global_buffer
      - .actual_access:  read_only
        .address_space:  global
        .offset:         24
        .size:           8
        .value_kind:     global_buffer
      - .actual_access:  read_only
        .address_space:  global
        .offset:         32
        .size:           8
        .value_kind:     global_buffer
      - .offset:         40
        .size:           8
        .value_kind:     by_value
      - .address_space:  global
        .offset:         48
        .size:           8
        .value_kind:     global_buffer
      - .address_space:  global
        .offset:         56
        .size:           8
        .value_kind:     global_buffer
      - .address_space:  global
        .offset:         64
        .size:           8
        .value_kind:     global_buffer
      - .address_space:  global
        .offset:         72
        .size:           8
        .value_kind:     global_buffer
      - .offset:         80
        .size:           4
        .value_kind:     by_value
      - .address_space:  global
        .offset:         88
        .size:           8
        .value_kind:     global_buffer
      - .address_space:  global
        .offset:         96
        .size:           8
        .value_kind:     global_buffer
    .group_segment_fixed_size: 27104
    .kernarg_segment_align: 8
    .kernarg_segment_size: 104
    .language:       OpenCL C
    .language_version:
      - 2
      - 0
    .max_flat_workgroup_size: 154
    .name:           bluestein_single_back_len1694_dim1_dp_op_CI_CI
    .private_segment_fixed_size: 0
    .sgpr_count:     46
    .sgpr_spill_count: 0
    .symbol:         bluestein_single_back_len1694_dim1_dp_op_CI_CI.kd
    .uniform_work_group_size: 1
    .uses_dynamic_stack: false
    .vgpr_count:     265
    .vgpr_spill_count: 0
    .wavefront_size: 64
amdhsa.target:   amdgcn-amd-amdhsa--gfx950
amdhsa.version:
  - 1
  - 2
...

	.end_amdgpu_metadata
